;; amdgpu-corpus repo=ROCm/rocSOLVER kind=compiled arch=gfx906 opt=O3
	.amdgcn_target "amdgcn-amd-amdhsa--gfx906"
	.amdhsa_code_object_version 6
	.section	.text._ZN9rocsolver6v33100L6iota_nIfEEvPT_jS2_,"axG",@progbits,_ZN9rocsolver6v33100L6iota_nIfEEvPT_jS2_,comdat
	.globl	_ZN9rocsolver6v33100L6iota_nIfEEvPT_jS2_ ; -- Begin function _ZN9rocsolver6v33100L6iota_nIfEEvPT_jS2_
	.p2align	8
	.type	_ZN9rocsolver6v33100L6iota_nIfEEvPT_jS2_,@function
_ZN9rocsolver6v33100L6iota_nIfEEvPT_jS2_: ; @_ZN9rocsolver6v33100L6iota_nIfEEvPT_jS2_
; %bb.0:
	s_load_dwordx2 s[0:1], s[4:5], 0x8
	s_waitcnt lgkmcnt(0)
	v_cmp_gt_u32_e32 vcc, s0, v0
	s_and_saveexec_b64 s[2:3], vcc
	s_cbranch_execz .LBB0_2
; %bb.1:
	s_load_dwordx2 s[2:3], s[4:5], 0x0
	v_lshlrev_b32_e32 v1, 2, v0
	v_cvt_f32_ubyte0_e32 v0, v0
	v_add_f32_e32 v0, s1, v0
	s_waitcnt lgkmcnt(0)
	global_store_dword v1, v0, s[2:3]
.LBB0_2:
	s_endpgm
	.section	.rodata,"a",@progbits
	.p2align	6, 0x0
	.amdhsa_kernel _ZN9rocsolver6v33100L6iota_nIfEEvPT_jS2_
		.amdhsa_group_segment_fixed_size 0
		.amdhsa_private_segment_fixed_size 0
		.amdhsa_kernarg_size 16
		.amdhsa_user_sgpr_count 6
		.amdhsa_user_sgpr_private_segment_buffer 1
		.amdhsa_user_sgpr_dispatch_ptr 0
		.amdhsa_user_sgpr_queue_ptr 0
		.amdhsa_user_sgpr_kernarg_segment_ptr 1
		.amdhsa_user_sgpr_dispatch_id 0
		.amdhsa_user_sgpr_flat_scratch_init 0
		.amdhsa_user_sgpr_private_segment_size 0
		.amdhsa_uses_dynamic_stack 0
		.amdhsa_system_sgpr_private_segment_wavefront_offset 0
		.amdhsa_system_sgpr_workgroup_id_x 1
		.amdhsa_system_sgpr_workgroup_id_y 0
		.amdhsa_system_sgpr_workgroup_id_z 0
		.amdhsa_system_sgpr_workgroup_info 0
		.amdhsa_system_vgpr_workitem_id 0
		.amdhsa_next_free_vgpr 2
		.amdhsa_next_free_sgpr 6
		.amdhsa_reserve_vcc 1
		.amdhsa_reserve_flat_scratch 0
		.amdhsa_float_round_mode_32 0
		.amdhsa_float_round_mode_16_64 0
		.amdhsa_float_denorm_mode_32 3
		.amdhsa_float_denorm_mode_16_64 3
		.amdhsa_dx10_clamp 1
		.amdhsa_ieee_mode 1
		.amdhsa_fp16_overflow 0
		.amdhsa_exception_fp_ieee_invalid_op 0
		.amdhsa_exception_fp_denorm_src 0
		.amdhsa_exception_fp_ieee_div_zero 0
		.amdhsa_exception_fp_ieee_overflow 0
		.amdhsa_exception_fp_ieee_underflow 0
		.amdhsa_exception_fp_ieee_inexact 0
		.amdhsa_exception_int_div_zero 0
	.end_amdhsa_kernel
	.section	.text._ZN9rocsolver6v33100L6iota_nIfEEvPT_jS2_,"axG",@progbits,_ZN9rocsolver6v33100L6iota_nIfEEvPT_jS2_,comdat
.Lfunc_end0:
	.size	_ZN9rocsolver6v33100L6iota_nIfEEvPT_jS2_, .Lfunc_end0-_ZN9rocsolver6v33100L6iota_nIfEEvPT_jS2_
                                        ; -- End function
	.set _ZN9rocsolver6v33100L6iota_nIfEEvPT_jS2_.num_vgpr, 2
	.set _ZN9rocsolver6v33100L6iota_nIfEEvPT_jS2_.num_agpr, 0
	.set _ZN9rocsolver6v33100L6iota_nIfEEvPT_jS2_.numbered_sgpr, 6
	.set _ZN9rocsolver6v33100L6iota_nIfEEvPT_jS2_.num_named_barrier, 0
	.set _ZN9rocsolver6v33100L6iota_nIfEEvPT_jS2_.private_seg_size, 0
	.set _ZN9rocsolver6v33100L6iota_nIfEEvPT_jS2_.uses_vcc, 1
	.set _ZN9rocsolver6v33100L6iota_nIfEEvPT_jS2_.uses_flat_scratch, 0
	.set _ZN9rocsolver6v33100L6iota_nIfEEvPT_jS2_.has_dyn_sized_stack, 0
	.set _ZN9rocsolver6v33100L6iota_nIfEEvPT_jS2_.has_recursion, 0
	.set _ZN9rocsolver6v33100L6iota_nIfEEvPT_jS2_.has_indirect_call, 0
	.section	.AMDGPU.csdata,"",@progbits
; Kernel info:
; codeLenInByte = 60
; TotalNumSgprs: 10
; NumVgprs: 2
; ScratchSize: 0
; MemoryBound: 0
; FloatMode: 240
; IeeeMode: 1
; LDSByteSize: 0 bytes/workgroup (compile time only)
; SGPRBlocks: 1
; VGPRBlocks: 0
; NumSGPRsForWavesPerEU: 10
; NumVGPRsForWavesPerEU: 2
; Occupancy: 10
; WaveLimiterHint : 0
; COMPUTE_PGM_RSRC2:SCRATCH_EN: 0
; COMPUTE_PGM_RSRC2:USER_SGPR: 6
; COMPUTE_PGM_RSRC2:TRAP_HANDLER: 0
; COMPUTE_PGM_RSRC2:TGID_X_EN: 1
; COMPUTE_PGM_RSRC2:TGID_Y_EN: 0
; COMPUTE_PGM_RSRC2:TGID_Z_EN: 0
; COMPUTE_PGM_RSRC2:TIDIG_COMP_CNT: 0
	.section	.text._ZN9rocsolver6v33100L18geqr2_kernel_smallILi256EfifPKPfEEvT1_S5_T3_lS5_lPT2_lPT0_l,"axG",@progbits,_ZN9rocsolver6v33100L18geqr2_kernel_smallILi256EfifPKPfEEvT1_S5_T3_lS5_lPT2_lPT0_l,comdat
	.globl	_ZN9rocsolver6v33100L18geqr2_kernel_smallILi256EfifPKPfEEvT1_S5_T3_lS5_lPT2_lPT0_l ; -- Begin function _ZN9rocsolver6v33100L18geqr2_kernel_smallILi256EfifPKPfEEvT1_S5_T3_lS5_lPT2_lPT0_l
	.p2align	8
	.type	_ZN9rocsolver6v33100L18geqr2_kernel_smallILi256EfifPKPfEEvT1_S5_T3_lS5_lPT2_lPT0_l,@function
_ZN9rocsolver6v33100L18geqr2_kernel_smallILi256EfifPKPfEEvT1_S5_T3_lS5_lPT2_lPT0_l: ; @_ZN9rocsolver6v33100L18geqr2_kernel_smallILi256EfifPKPfEEvT1_S5_T3_lS5_lPT2_lPT0_l
; %bb.0:
	s_load_dwordx4 s[0:3], s[4:5], 0x8
	s_mov_b32 s6, s7
	s_ashr_i32 s7, s7, 31
	s_lshl_b64 s[8:9], s[6:7], 3
	v_and_b32_e32 v1, 0x7f, v0
	s_waitcnt lgkmcnt(0)
	s_add_u32 s0, s0, s8
	s_addc_u32 s1, s1, s9
	s_load_dwordx2 s[8:9], s[0:1], 0x0
	s_load_dwordx2 s[16:17], s[4:5], 0x0
	s_load_dword s26, s[4:5], 0x18
	s_lshl_b64 s[0:1], s[2:3], 2
	v_lshrrev_b32_e32 v5, 7, v0
	s_waitcnt lgkmcnt(0)
	s_add_u32 s24, s8, s0
	s_addc_u32 s25, s9, s1
	v_cmp_gt_i32_e64 s[0:1], s16, v1
	v_lshlrev_b32_e32 v6, 2, v1
	s_and_saveexec_b64 s[8:9], s[0:1]
	s_cbranch_execz .LBB1_6
; %bb.1:
	v_lshrrev_b32_e32 v7, 7, v0
	v_mul_lo_u32 v2, s16, v7
	s_lshl_b32 s18, s16, 3
	v_cmp_gt_i32_e32 vcc, s17, v7
	s_lshl_b32 s19, s26, 1
	v_lshlrev_b32_e32 v2, 2, v2
	v_add3_u32 v8, v2, v6, 0
	v_mad_u64_u32 v[2:3], s[2:3], s26, v7, v[1:2]
	s_mov_b64 s[10:11], 0
	v_mov_b32_e32 v9, v1
	s_branch .LBB1_3
.LBB1_2:                                ;   in Loop: Header=BB1_3 Depth=1
	s_or_b64 exec, exec, s[12:13]
	v_add_u32_e32 v9, 0x80, v9
	v_cmp_le_i32_e64 s[2:3], s16, v9
	v_add_u32_e32 v8, 0x200, v8
	s_or_b64 s[10:11], s[2:3], s[10:11]
	v_add_u32_e32 v2, 0x80, v2
	s_andn2_b64 exec, exec, s[10:11]
	s_cbranch_execz .LBB1_6
.LBB1_3:                                ; =>This Loop Header: Depth=1
                                        ;     Child Loop BB1_5 Depth 2
	s_and_saveexec_b64 s[12:13], vcc
	s_cbranch_execz .LBB1_2
; %bb.4:                                ;   in Loop: Header=BB1_3 Depth=1
	s_mov_b64 s[14:15], 0
	v_mov_b32_e32 v3, v2
	v_mov_b32_e32 v10, v8
	;; [unrolled: 1-line block ×3, first 2 shown]
.LBB1_5:                                ;   Parent Loop BB1_3 Depth=1
                                        ; =>  This Inner Loop Header: Depth=2
	v_ashrrev_i32_e32 v4, 31, v3
	v_lshlrev_b64 v[12:13], 2, v[3:4]
	v_mov_b32_e32 v14, s25
	v_add_co_u32_e64 v12, s[2:3], s24, v12
	v_addc_co_u32_e64 v13, s[2:3], v14, v13, s[2:3]
	flat_load_dword v4, v[12:13]
	v_add_u32_e32 v11, 2, v11
	v_cmp_le_i32_e64 s[2:3], s17, v11
	v_add_u32_e32 v3, s19, v3
	s_or_b64 s[14:15], s[2:3], s[14:15]
	s_waitcnt vmcnt(0) lgkmcnt(0)
	ds_write_b32 v10, v4
	v_add_u32_e32 v10, s18, v10
	s_andn2_b64 exec, exec, s[14:15]
	s_cbranch_execnz .LBB1_5
	s_branch .LBB1_2
.LBB1_6:
	s_or_b64 exec, exec, s[8:9]
	s_min_i32 s27, s17, s16
	s_cmp_lt_i32 s27, 1
	s_waitcnt lgkmcnt(0)
	s_barrier
	s_cbranch_scc1 .LBB1_43
; %bb.7:
	s_load_dwordx8 s[8:15], s[4:5], 0x28
	v_mbcnt_lo_u32_b32 v2, -1, 0
	v_mbcnt_hi_u32_b32 v9, -1, v2
	v_and_b32_e32 v8, 63, v9
	v_cmp_ne_u32_e32 vcc, 63, v8
	s_waitcnt lgkmcnt(0)
	s_mul_i32 s3, s10, s7
	s_mul_hi_u32 s4, s10, s6
	s_mul_i32 s5, s11, s6
	s_add_i32 s3, s4, s3
	s_mul_i32 s2, s10, s6
	s_add_i32 s3, s3, s5
	s_lshl_b64 s[2:3], s[2:3], 2
	s_mul_i32 s7, s14, s7
	s_add_u32 s28, s8, s2
	s_mul_hi_u32 s2, s14, s6
	s_addc_u32 s29, s9, s3
	s_add_i32 s2, s2, s7
	s_mul_i32 s3, s15, s6
	s_add_i32 s3, s2, s3
	s_mul_i32 s2, s14, s6
	s_lshl_b64 s[2:3], s[2:3], 2
	s_add_u32 s30, s12, s2
	s_mul_i32 s2, s17, s16
	s_addc_u32 s31, s13, s3
	s_lshl_b32 s2, s2, 2
	v_addc_co_u32_e32 v2, vcc, 0, v9, vcc
	s_add_i32 s33, s2, 0
	s_lshl_b32 s2, s17, 2
	v_cmp_gt_u32_e32 vcc, 62, v8
	s_add_i32 s34, s33, s2
	v_cndmask_b32_e64 v3, 0, 2, vcc
	v_cmp_gt_u32_e32 vcc, 60, v8
	v_mul_lo_u32 v11, s16, v0
	v_cndmask_b32_e64 v4, 0, 4, vcc
	v_cmp_gt_u32_e32 vcc, 56, v8
	s_cmp_eq_u64 s[8:9], 0
	v_cndmask_b32_e64 v7, 0, 8, vcc
	v_cmp_gt_u32_e32 vcc, 48, v8
	s_cselect_b64 s[12:13], -1, 0
	s_cmp_lg_u64 s[8:9], 0
	v_cndmask_b32_e64 v8, 0, 16, vcc
	v_mov_b32_e32 v10, 0x80
	s_cselect_b64 s[14:15], -1, 0
	s_lshl_b32 s35, s16, 2
	s_mov_b32 s11, 0
	v_add_lshl_u32 v3, v3, v9, 2
	v_add_lshl_u32 v4, v4, v9, 2
	;; [unrolled: 1-line block ×4, first 2 shown]
	v_lshl_or_b32 v9, v9, 2, v10
	v_and_b32_e32 v10, 63, v0
	v_lshrrev_b32_e32 v13, 4, v0
	v_lshlrev_b32_e32 v12, 2, v0
	v_add_u32_e32 v11, s16, v11
	s_add_i32 s6, s35, 0
	v_lshlrev_b32_e32 v2, 2, v2
	v_cmp_eq_u32_e64 s[2:3], 0, v10
	v_cmp_eq_u32_e64 s[4:5], 0, v0
	v_add3_u32 v10, v12, 0, 4
	s_add_i32 s36, s35, 4
	v_lshl_add_u32 v11, v11, 2, 0
	s_lshl_b32 s37, s16, 10
	v_add_u32_e32 v12, s6, v12
	v_add_u32_e32 v13, s34, v13
	v_mov_b32_e32 v14, 0
	s_mov_b32 s38, 0xf800000
	s_mov_b32 s39, 0
	;; [unrolled: 1-line block ×5, first 2 shown]
	s_branch .LBB1_9
.LBB1_8:                                ;   in Loop: Header=BB1_9 Depth=1
	s_or_b64 exec, exec, s[6:7]
	s_add_i32 s40, s40, -1
	s_add_i32 s10, s10, 1
	s_add_i32 s41, s41, -1
	s_add_i32 s39, s39, s36
	v_add_u32_e32 v10, s36, v10
	v_add_u32_e32 v11, s36, v11
	s_cmp_eq_u32 s10, s27
	v_add_u32_e32 v12, s36, v12
	s_waitcnt lgkmcnt(0)
	s_barrier
	s_cbranch_scc1 .LBB1_43
.LBB1_9:                                ; =>This Loop Header: Depth=1
                                        ;     Child Loop BB1_11 Depth 2
                                        ;     Child Loop BB1_24 Depth 2
	;; [unrolled: 1-line block ×3, first 2 shown]
                                        ;       Child Loop BB1_30 Depth 3
                                        ;     Child Loop BB1_34 Depth 2
                                        ;       Child Loop BB1_36 Depth 3
	s_sub_i32 s42, s16, s10
	s_add_i32 s44, s42, -1
	v_cmp_gt_i32_e64 s[6:7], s44, v0
	v_mov_b32_e32 v15, 0
	s_and_saveexec_b64 s[8:9], s[6:7]
	s_cbranch_execz .LBB1_13
; %bb.10:                               ;   in Loop: Header=BB1_9 Depth=1
	v_mov_b32_e32 v15, 0
	s_mov_b64 s[18:19], 0
	v_mov_b32_e32 v16, v10
	v_mov_b32_e32 v17, v0
.LBB1_11:                               ;   Parent Loop BB1_9 Depth=1
                                        ; =>  This Inner Loop Header: Depth=2
	ds_read_b32 v18, v16
	v_add_u32_e32 v17, 0x100, v17
	v_cmp_le_i32_e32 vcc, s44, v17
	v_add_u32_e32 v16, 0x400, v16
	s_or_b64 s[18:19], vcc, s[18:19]
	s_waitcnt lgkmcnt(0)
	v_fmac_f32_e32 v15, v18, v18
	s_andn2_b64 exec, exec, s[18:19]
	s_cbranch_execnz .LBB1_11
; %bb.12:                               ;   in Loop: Header=BB1_9 Depth=1
	s_or_b64 exec, exec, s[18:19]
.LBB1_13:                               ;   in Loop: Header=BB1_9 Depth=1
	s_or_b64 exec, exec, s[8:9]
	ds_bpermute_b32 v16, v2, v15
	s_waitcnt lgkmcnt(0)
	v_add_f32_e32 v15, v15, v16
	ds_bpermute_b32 v16, v3, v15
	s_waitcnt lgkmcnt(0)
	v_add_f32_e32 v15, v15, v16
	;; [unrolled: 3-line block ×6, first 2 shown]
	s_and_saveexec_b64 s[8:9], s[2:3]
; %bb.14:                               ;   in Loop: Header=BB1_9 Depth=1
	ds_write_b32 v13, v15 offset:4
; %bb.15:                               ;   in Loop: Header=BB1_9 Depth=1
	s_or_b64 exec, exec, s[8:9]
	s_lshl_b32 s8, s10, 2
	s_add_i32 s43, s8, 0
	s_mul_i32 s8, s10, s16
	s_lshl_b32 s8, s8, 2
	s_add_i32 s43, s43, s8
	s_waitcnt lgkmcnt(0)
	s_barrier
	s_and_saveexec_b64 s[18:19], s[4:5]
	s_cbranch_execz .LBB1_22
; %bb.16:                               ;   in Loop: Header=BB1_9 Depth=1
	v_mov_b32_e32 v18, s34
	ds_read2_b32 v[16:17], v18 offset0:2 offset1:3
	ds_read_b32 v18, v18 offset:16
	s_mov_b64 s[8:9], 0
	s_mov_b64 s[20:21], 0
	s_waitcnt lgkmcnt(1)
	v_add_f32_e32 v15, v15, v16
	v_add_f32_e32 v15, v15, v17
	s_waitcnt lgkmcnt(0)
	v_add_f32_e32 v17, v15, v18
	v_cmp_nlt_f32_e32 vcc, 0, v17
                                        ; implicit-def: $vgpr15
	s_and_saveexec_b64 s[22:23], vcc
	s_xor_b64 s[22:23], exec, s[22:23]
	s_cbranch_execnz .LBB1_37
; %bb.17:                               ;   in Loop: Header=BB1_9 Depth=1
	s_or_saveexec_b64 s[22:23], s[22:23]
	v_mov_b32_e32 v16, 1.0
	s_xor_b64 exec, exec, s[22:23]
	s_cbranch_execnz .LBB1_41
.LBB1_18:                               ;   in Loop: Header=BB1_9 Depth=1
	s_or_b64 exec, exec, s[22:23]
	s_and_saveexec_b64 s[22:23], s[20:21]
	s_cbranch_execnz .LBB1_42
.LBB1_19:                               ;   in Loop: Header=BB1_9 Depth=1
	s_or_b64 exec, exec, s[22:23]
	v_mov_b32_e32 v17, 0
	s_and_saveexec_b64 s[20:21], s[8:9]
	s_cbranch_execz .LBB1_21
.LBB1_20:                               ;   in Loop: Header=BB1_9 Depth=1
	v_mov_b32_e32 v17, s43
	s_waitcnt lgkmcnt(0)
	ds_write_b32 v17, v15
	v_mov_b32_e32 v15, s34
	ds_read_b32 v17, v15
.LBB1_21:                               ;   in Loop: Header=BB1_9 Depth=1
	s_or_b64 exec, exec, s[20:21]
	s_lshl_b64 s[8:9], s[10:11], 2
	s_add_u32 s8, s30, s8
	s_addc_u32 s9, s31, s9
	s_waitcnt lgkmcnt(0)
	v_mov_b32_e32 v15, s34
	global_store_dword v14, v17, s[8:9]
	ds_write_b32 v15, v16 offset:4
.LBB1_22:                               ;   in Loop: Header=BB1_9 Depth=1
	s_or_b64 exec, exec, s[18:19]
	s_waitcnt vmcnt(0) lgkmcnt(0)
	s_barrier
	s_and_saveexec_b64 s[8:9], s[6:7]
	s_cbranch_execz .LBB1_25
; %bb.23:                               ;   in Loop: Header=BB1_9 Depth=1
	s_mov_b32 s18, 0
	s_mov_b64 s[6:7], 0
	v_mov_b32_e32 v15, v0
.LBB1_24:                               ;   Parent Loop BB1_9 Depth=1
                                        ; =>  This Inner Loop Header: Depth=2
	v_mov_b32_e32 v16, s34
	v_add_u32_e32 v17, s18, v10
	ds_read_b32 v16, v16 offset:4
	ds_read_b32 v18, v17
	v_add_u32_e32 v15, 0x100, v15
	s_addk_i32 s18, 0x400
	v_cmp_le_i32_e32 vcc, s44, v15
	s_or_b64 s[6:7], vcc, s[6:7]
	s_waitcnt lgkmcnt(0)
	v_mul_f32_e32 v16, v16, v18
	ds_write_b32 v17, v16
	s_andn2_b64 exec, exec, s[6:7]
	s_cbranch_execnz .LBB1_24
.LBB1_25:                               ;   in Loop: Header=BB1_9 Depth=1
	s_or_b64 exec, exec, s[8:9]
	s_not_b32 s6, s10
	s_add_i32 s20, s17, s6
	v_cmp_gt_i32_e32 vcc, s20, v0
	s_waitcnt lgkmcnt(0)
	s_barrier
	s_and_saveexec_b64 s[6:7], vcc
	s_cbranch_execz .LBB1_31
; %bb.26:                               ;   in Loop: Header=BB1_9 Depth=1
	s_cmp_gt_i32 s42, 0
	s_mov_b64 s[8:9], 0
	s_cselect_b64 s[18:19], -1, 0
	v_mov_b32_e32 v15, v11
	v_mov_b32_e32 v16, v0
	s_branch .LBB1_28
.LBB1_27:                               ;   in Loop: Header=BB1_28 Depth=2
	v_mov_b32_e32 v18, s34
	ds_read_b32 v18, v18
	v_lshl_add_u32 v19, v16, 2, s33
	v_add_u32_e32 v16, 0x100, v16
	v_cmp_le_i32_e32 vcc, s20, v16
	s_or_b64 s[8:9], vcc, s[8:9]
	s_waitcnt lgkmcnt(0)
	v_mul_f32_e32 v17, v17, v18
	v_add_u32_e32 v15, s37, v15
	ds_write_b32 v19, v17
	s_andn2_b64 exec, exec, s[8:9]
	s_cbranch_execz .LBB1_31
.LBB1_28:                               ;   Parent Loop BB1_9 Depth=1
                                        ; =>  This Loop Header: Depth=2
                                        ;       Child Loop BB1_30 Depth 3
	v_mov_b32_e32 v17, 0
	s_andn2_b64 vcc, exec, s[18:19]
	s_cbranch_vccnz .LBB1_27
; %bb.29:                               ;   in Loop: Header=BB1_28 Depth=2
	s_mov_b32 s21, s39
	s_mov_b32 s22, s41
	v_mov_b32_e32 v18, v15
.LBB1_30:                               ;   Parent Loop BB1_9 Depth=1
                                        ;     Parent Loop BB1_28 Depth=2
                                        ; =>    This Inner Loop Header: Depth=3
	v_mov_b32_e32 v20, s21
	ds_read_b32 v19, v18
	ds_read_b32 v20, v20
	s_add_i32 s22, s22, -1
	s_add_i32 s21, s21, 4
	v_add_u32_e32 v18, 4, v18
	s_cmp_eq_u32 s22, 0
	s_waitcnt lgkmcnt(0)
	v_fmac_f32_e32 v17, v19, v20
	s_cbranch_scc0 .LBB1_30
	s_branch .LBB1_27
.LBB1_31:                               ;   in Loop: Header=BB1_9 Depth=1
	s_or_b64 exec, exec, s[6:7]
	v_cmp_gt_i32_e32 vcc, s42, v0
	s_waitcnt lgkmcnt(0)
	s_barrier
	s_and_saveexec_b64 s[6:7], vcc
	s_cbranch_execz .LBB1_8
; %bb.32:                               ;   in Loop: Header=BB1_9 Depth=1
	s_cmp_gt_i32 s20, 0
	s_mov_b64 s[8:9], 0
	s_cselect_b64 s[18:19], -1, 0
	v_mov_b32_e32 v15, v12
	v_mov_b32_e32 v16, v0
	s_branch .LBB1_34
.LBB1_33:                               ;   in Loop: Header=BB1_34 Depth=2
	v_add_u32_e32 v16, 0x100, v16
	v_cmp_le_i32_e32 vcc, s42, v16
	s_or_b64 s[8:9], vcc, s[8:9]
	v_add_u32_e32 v15, 0x400, v15
	s_andn2_b64 exec, exec, s[8:9]
	s_cbranch_execz .LBB1_8
.LBB1_34:                               ;   Parent Loop BB1_9 Depth=1
                                        ; =>  This Loop Header: Depth=2
                                        ;       Child Loop BB1_36 Depth 3
	s_andn2_b64 vcc, exec, s[18:19]
	s_cbranch_vccnz .LBB1_33
; %bb.35:                               ;   in Loop: Header=BB1_34 Depth=2
	v_lshl_add_u32 v17, v16, 2, s43
	s_mov_b32 s20, 1
	s_mov_b32 s21, s33
	v_mov_b32_e32 v18, v15
.LBB1_36:                               ;   Parent Loop BB1_9 Depth=1
                                        ;     Parent Loop BB1_34 Depth=2
                                        ; =>    This Inner Loop Header: Depth=3
	v_mov_b32_e32 v21, s21
	ds_read_b32 v19, v18
	ds_read_b32 v20, v17
	;; [unrolled: 1-line block ×3, first 2 shown]
	s_add_i32 s20, s20, 1
	s_add_i32 s21, s21, 4
	s_cmp_eq_u32 s40, s20
	s_waitcnt lgkmcnt(0)
	v_fma_f32 v19, -v20, v21, v19
	ds_write_b32 v18, v19
	v_add_u32_e32 v18, s35, v18
	s_cbranch_scc0 .LBB1_36
	s_branch .LBB1_33
.LBB1_37:                               ;   in Loop: Header=BB1_9 Depth=1
	v_mov_b32_e32 v15, s34
	s_and_b64 vcc, exec, s[14:15]
	ds_write_b32 v15, v14
	s_cbranch_vccz .LBB1_39
; %bb.38:                               ;   in Loop: Header=BB1_9 Depth=1
	v_mov_b32_e32 v15, s43
	ds_read_b32 v15, v15
	s_mov_b64 s[20:21], -1
	s_branch .LBB1_40
.LBB1_39:                               ;   in Loop: Header=BB1_9 Depth=1
                                        ; implicit-def: $vgpr15
.LBB1_40:                               ;   in Loop: Header=BB1_9 Depth=1
	s_and_b64 s[20:21], s[20:21], exec
                                        ; implicit-def: $vgpr17
	s_or_saveexec_b64 s[22:23], s[22:23]
	v_mov_b32_e32 v16, 1.0
	s_xor_b64 exec, exec, s[22:23]
	s_cbranch_execz .LBB1_18
.LBB1_41:                               ;   in Loop: Header=BB1_9 Depth=1
	s_waitcnt lgkmcnt(0)
	v_mov_b32_e32 v15, s43
	ds_read_b32 v16, v15
	v_mov_b32_e32 v18, 0x260
	s_andn2_b64 s[20:21], s[20:21], exec
	s_and_b64 s[46:47], s[14:15], exec
	s_or_b64 s[20:21], s[20:21], s[46:47]
	s_waitcnt lgkmcnt(0)
	v_fmac_f32_e32 v17, v16, v16
	v_mul_f32_e32 v15, 0x4f800000, v17
	v_cmp_gt_f32_e32 vcc, s38, v17
	v_cndmask_b32_e32 v15, v17, v15, vcc
	v_sqrt_f32_e32 v17, v15
	v_add_u32_e32 v19, -1, v17
	v_add_u32_e32 v20, 1, v17
	v_fma_f32 v21, -v19, v17, v15
	v_fma_f32 v22, -v20, v17, v15
	v_cmp_ge_f32_e64 s[8:9], 0, v21
	v_cndmask_b32_e64 v17, v17, v19, s[8:9]
	v_cmp_lt_f32_e64 s[8:9], 0, v22
	v_cndmask_b32_e64 v17, v17, v20, s[8:9]
	v_mul_f32_e32 v19, 0x37800000, v17
	v_cndmask_b32_e32 v17, v17, v19, vcc
	v_cmp_class_f32_e32 vcc, v15, v18
	v_cndmask_b32_e32 v15, v17, v15, vcc
	v_cmp_le_f32_e32 vcc, 0, v16
	v_cndmask_b32_e64 v15, v15, -v15, vcc
	v_sub_f32_e32 v17, v16, v15
	v_div_scale_f32 v18, s[8:9], v17, v17, 1.0
	v_sub_f32_e32 v19, v15, v16
	v_div_scale_f32 v16, s[8:9], v15, v15, v19
	v_div_scale_f32 v20, vcc, 1.0, v17, 1.0
	v_div_scale_f32 v21, s[8:9], v19, v15, v19
	v_rcp_f32_e32 v22, v18
	v_rcp_f32_e32 v23, v16
	v_fma_f32 v24, -v18, v22, 1.0
	v_fmac_f32_e32 v22, v24, v22
	v_mul_f32_e32 v24, v20, v22
	v_fma_f32 v25, -v16, v23, 1.0
	v_fmac_f32_e32 v23, v25, v23
	v_mul_f32_e32 v25, v21, v23
	v_fma_f32 v26, -v18, v24, v20
	v_fma_f32 v27, -v16, v25, v21
	v_fmac_f32_e32 v24, v26, v22
	v_fmac_f32_e32 v25, v27, v23
	v_fma_f32 v18, -v18, v24, v20
	v_fma_f32 v16, -v16, v25, v21
	v_div_fmas_f32 v18, v18, v22, v24
	s_mov_b64 vcc, s[8:9]
	v_div_fmas_f32 v20, v16, v23, v25
	v_mov_b32_e32 v21, s34
	s_and_b64 s[8:9], s[12:13], exec
	v_div_fixup_f32 v16, v18, v17, 1.0
	v_div_fixup_f32 v17, v20, v15, v19
	ds_write_b32 v21, v17
	s_or_b64 exec, exec, s[22:23]
	s_and_saveexec_b64 s[22:23], s[20:21]
	s_cbranch_execz .LBB1_19
.LBB1_42:                               ;   in Loop: Header=BB1_9 Depth=1
	s_lshl_b64 s[20:21], s[10:11], 2
	s_add_u32 s20, s28, s20
	s_addc_u32 s21, s29, s21
	s_waitcnt lgkmcnt(0)
	global_store_dword v14, v15, s[20:21]
	v_mov_b32_e32 v15, 1.0
	s_or_b64 s[8:9], s[8:9], exec
	s_or_b64 exec, exec, s[22:23]
	v_mov_b32_e32 v17, 0
	s_and_saveexec_b64 s[20:21], s[8:9]
	s_cbranch_execnz .LBB1_20
	s_branch .LBB1_21
.LBB1_43:
	s_and_saveexec_b64 s[2:3], s[0:1]
	s_cbranch_execz .LBB1_49
; %bb.44:
	v_mul_lo_u32 v0, s16, v5
	v_mad_u64_u32 v[2:3], s[0:1], s26, v5, v[1:2]
	v_cmp_gt_i32_e32 vcc, s17, v5
	v_lshlrev_b32_e32 v0, 2, v0
	s_lshl_b32 s8, s26, 1
	v_add3_u32 v0, v0, v6, 0
	s_lshl_b32 s9, s16, 3
	s_mov_b64 s[2:3], 0
	s_branch .LBB1_46
.LBB1_45:                               ;   in Loop: Header=BB1_46 Depth=1
	s_or_b64 exec, exec, s[4:5]
	v_add_u32_e32 v1, 0x80, v1
	v_cmp_le_i32_e64 s[0:1], s16, v1
	v_add_u32_e32 v2, 0x80, v2
	s_or_b64 s[2:3], s[0:1], s[2:3]
	v_add_u32_e32 v0, 0x200, v0
	s_andn2_b64 exec, exec, s[2:3]
	s_cbranch_execz .LBB1_49
.LBB1_46:                               ; =>This Loop Header: Depth=1
                                        ;     Child Loop BB1_48 Depth 2
	s_and_saveexec_b64 s[4:5], vcc
	s_cbranch_execz .LBB1_45
; %bb.47:                               ;   in Loop: Header=BB1_46 Depth=1
	s_mov_b64 s[6:7], 0
	v_mov_b32_e32 v6, v0
	v_mov_b32_e32 v3, v2
	;; [unrolled: 1-line block ×3, first 2 shown]
.LBB1_48:                               ;   Parent Loop BB1_46 Depth=1
                                        ; =>  This Inner Loop Header: Depth=2
	ds_read_b32 v10, v6
	v_ashrrev_i32_e32 v4, 31, v3
	v_add_u32_e32 v7, 2, v7
	v_lshlrev_b64 v[8:9], 2, v[3:4]
	v_cmp_le_i32_e64 s[0:1], s17, v7
	v_mov_b32_e32 v11, s25
	s_or_b64 s[6:7], s[0:1], s[6:7]
	v_add_co_u32_e64 v8, s[0:1], s24, v8
	v_add_u32_e32 v6, s9, v6
	v_add_u32_e32 v3, s8, v3
	v_addc_co_u32_e64 v9, s[0:1], v11, v9, s[0:1]
	s_waitcnt lgkmcnt(0)
	flat_store_dword v[8:9], v10
	s_andn2_b64 exec, exec, s[6:7]
	s_cbranch_execnz .LBB1_48
	s_branch .LBB1_45
.LBB1_49:
	s_endpgm
	.section	.rodata,"a",@progbits
	.p2align	6, 0x0
	.amdhsa_kernel _ZN9rocsolver6v33100L18geqr2_kernel_smallILi256EfifPKPfEEvT1_S5_T3_lS5_lPT2_lPT0_l
		.amdhsa_group_segment_fixed_size 0
		.amdhsa_private_segment_fixed_size 0
		.amdhsa_kernarg_size 72
		.amdhsa_user_sgpr_count 6
		.amdhsa_user_sgpr_private_segment_buffer 1
		.amdhsa_user_sgpr_dispatch_ptr 0
		.amdhsa_user_sgpr_queue_ptr 0
		.amdhsa_user_sgpr_kernarg_segment_ptr 1
		.amdhsa_user_sgpr_dispatch_id 0
		.amdhsa_user_sgpr_flat_scratch_init 0
		.amdhsa_user_sgpr_private_segment_size 0
		.amdhsa_uses_dynamic_stack 0
		.amdhsa_system_sgpr_private_segment_wavefront_offset 0
		.amdhsa_system_sgpr_workgroup_id_x 1
		.amdhsa_system_sgpr_workgroup_id_y 0
		.amdhsa_system_sgpr_workgroup_id_z 1
		.amdhsa_system_sgpr_workgroup_info 0
		.amdhsa_system_vgpr_workitem_id 0
		.amdhsa_next_free_vgpr 28
		.amdhsa_next_free_sgpr 48
		.amdhsa_reserve_vcc 1
		.amdhsa_reserve_flat_scratch 0
		.amdhsa_float_round_mode_32 0
		.amdhsa_float_round_mode_16_64 0
		.amdhsa_float_denorm_mode_32 3
		.amdhsa_float_denorm_mode_16_64 3
		.amdhsa_dx10_clamp 1
		.amdhsa_ieee_mode 1
		.amdhsa_fp16_overflow 0
		.amdhsa_exception_fp_ieee_invalid_op 0
		.amdhsa_exception_fp_denorm_src 0
		.amdhsa_exception_fp_ieee_div_zero 0
		.amdhsa_exception_fp_ieee_overflow 0
		.amdhsa_exception_fp_ieee_underflow 0
		.amdhsa_exception_fp_ieee_inexact 0
		.amdhsa_exception_int_div_zero 0
	.end_amdhsa_kernel
	.section	.text._ZN9rocsolver6v33100L18geqr2_kernel_smallILi256EfifPKPfEEvT1_S5_T3_lS5_lPT2_lPT0_l,"axG",@progbits,_ZN9rocsolver6v33100L18geqr2_kernel_smallILi256EfifPKPfEEvT1_S5_T3_lS5_lPT2_lPT0_l,comdat
.Lfunc_end1:
	.size	_ZN9rocsolver6v33100L18geqr2_kernel_smallILi256EfifPKPfEEvT1_S5_T3_lS5_lPT2_lPT0_l, .Lfunc_end1-_ZN9rocsolver6v33100L18geqr2_kernel_smallILi256EfifPKPfEEvT1_S5_T3_lS5_lPT2_lPT0_l
                                        ; -- End function
	.set _ZN9rocsolver6v33100L18geqr2_kernel_smallILi256EfifPKPfEEvT1_S5_T3_lS5_lPT2_lPT0_l.num_vgpr, 28
	.set _ZN9rocsolver6v33100L18geqr2_kernel_smallILi256EfifPKPfEEvT1_S5_T3_lS5_lPT2_lPT0_l.num_agpr, 0
	.set _ZN9rocsolver6v33100L18geqr2_kernel_smallILi256EfifPKPfEEvT1_S5_T3_lS5_lPT2_lPT0_l.numbered_sgpr, 48
	.set _ZN9rocsolver6v33100L18geqr2_kernel_smallILi256EfifPKPfEEvT1_S5_T3_lS5_lPT2_lPT0_l.num_named_barrier, 0
	.set _ZN9rocsolver6v33100L18geqr2_kernel_smallILi256EfifPKPfEEvT1_S5_T3_lS5_lPT2_lPT0_l.private_seg_size, 0
	.set _ZN9rocsolver6v33100L18geqr2_kernel_smallILi256EfifPKPfEEvT1_S5_T3_lS5_lPT2_lPT0_l.uses_vcc, 1
	.set _ZN9rocsolver6v33100L18geqr2_kernel_smallILi256EfifPKPfEEvT1_S5_T3_lS5_lPT2_lPT0_l.uses_flat_scratch, 0
	.set _ZN9rocsolver6v33100L18geqr2_kernel_smallILi256EfifPKPfEEvT1_S5_T3_lS5_lPT2_lPT0_l.has_dyn_sized_stack, 0
	.set _ZN9rocsolver6v33100L18geqr2_kernel_smallILi256EfifPKPfEEvT1_S5_T3_lS5_lPT2_lPT0_l.has_recursion, 0
	.set _ZN9rocsolver6v33100L18geqr2_kernel_smallILi256EfifPKPfEEvT1_S5_T3_lS5_lPT2_lPT0_l.has_indirect_call, 0
	.section	.AMDGPU.csdata,"",@progbits
; Kernel info:
; codeLenInByte = 2324
; TotalNumSgprs: 52
; NumVgprs: 28
; ScratchSize: 0
; MemoryBound: 0
; FloatMode: 240
; IeeeMode: 1
; LDSByteSize: 0 bytes/workgroup (compile time only)
; SGPRBlocks: 6
; VGPRBlocks: 6
; NumSGPRsForWavesPerEU: 52
; NumVGPRsForWavesPerEU: 28
; Occupancy: 9
; WaveLimiterHint : 1
; COMPUTE_PGM_RSRC2:SCRATCH_EN: 0
; COMPUTE_PGM_RSRC2:USER_SGPR: 6
; COMPUTE_PGM_RSRC2:TRAP_HANDLER: 0
; COMPUTE_PGM_RSRC2:TGID_X_EN: 1
; COMPUTE_PGM_RSRC2:TGID_Y_EN: 0
; COMPUTE_PGM_RSRC2:TGID_Z_EN: 1
; COMPUTE_PGM_RSRC2:TIDIG_COMP_CNT: 0
	.section	.text._ZN9rocsolver6v33100L16reset_batch_infoIfiiPfEEvT2_lT0_T1_,"axG",@progbits,_ZN9rocsolver6v33100L16reset_batch_infoIfiiPfEEvT2_lT0_T1_,comdat
	.globl	_ZN9rocsolver6v33100L16reset_batch_infoIfiiPfEEvT2_lT0_T1_ ; -- Begin function _ZN9rocsolver6v33100L16reset_batch_infoIfiiPfEEvT2_lT0_T1_
	.p2align	8
	.type	_ZN9rocsolver6v33100L16reset_batch_infoIfiiPfEEvT2_lT0_T1_,@function
_ZN9rocsolver6v33100L16reset_batch_infoIfiiPfEEvT2_lT0_T1_: ; @_ZN9rocsolver6v33100L16reset_batch_infoIfiiPfEEvT2_lT0_T1_
; %bb.0:
	s_load_dword s2, s[4:5], 0x24
	s_load_dwordx2 s[0:1], s[4:5], 0x10
	s_waitcnt lgkmcnt(0)
	s_and_b32 s2, s2, 0xffff
	s_mul_i32 s6, s6, s2
	v_add_u32_e32 v0, s6, v0
	v_cmp_gt_i32_e32 vcc, s0, v0
	s_and_saveexec_b64 s[2:3], vcc
	s_cbranch_execz .LBB2_2
; %bb.1:
	s_load_dwordx4 s[8:11], s[4:5], 0x0
	s_ashr_i32 s0, s7, 31
	v_ashrrev_i32_e32 v1, 31, v0
	v_lshlrev_b64 v[0:1], 2, v[0:1]
	v_cvt_f32_i32_e32 v3, s1
	s_waitcnt lgkmcnt(0)
	s_mul_hi_u32 s3, s10, s7
	s_mul_i32 s0, s10, s0
	s_mul_i32 s4, s11, s7
	s_add_i32 s0, s3, s0
	s_mul_i32 s2, s10, s7
	s_add_i32 s3, s0, s4
	s_lshl_b64 s[2:3], s[2:3], 2
	s_add_u32 s0, s8, s2
	s_addc_u32 s2, s9, s3
	v_mov_b32_e32 v2, s2
	v_add_co_u32_e32 v0, vcc, s0, v0
	v_addc_co_u32_e32 v1, vcc, v2, v1, vcc
	global_store_dword v[0:1], v3, off
.LBB2_2:
	s_endpgm
	.section	.rodata,"a",@progbits
	.p2align	6, 0x0
	.amdhsa_kernel _ZN9rocsolver6v33100L16reset_batch_infoIfiiPfEEvT2_lT0_T1_
		.amdhsa_group_segment_fixed_size 0
		.amdhsa_private_segment_fixed_size 0
		.amdhsa_kernarg_size 280
		.amdhsa_user_sgpr_count 6
		.amdhsa_user_sgpr_private_segment_buffer 1
		.amdhsa_user_sgpr_dispatch_ptr 0
		.amdhsa_user_sgpr_queue_ptr 0
		.amdhsa_user_sgpr_kernarg_segment_ptr 1
		.amdhsa_user_sgpr_dispatch_id 0
		.amdhsa_user_sgpr_flat_scratch_init 0
		.amdhsa_user_sgpr_private_segment_size 0
		.amdhsa_uses_dynamic_stack 0
		.amdhsa_system_sgpr_private_segment_wavefront_offset 0
		.amdhsa_system_sgpr_workgroup_id_x 1
		.amdhsa_system_sgpr_workgroup_id_y 1
		.amdhsa_system_sgpr_workgroup_id_z 0
		.amdhsa_system_sgpr_workgroup_info 0
		.amdhsa_system_vgpr_workitem_id 0
		.amdhsa_next_free_vgpr 4
		.amdhsa_next_free_sgpr 12
		.amdhsa_reserve_vcc 1
		.amdhsa_reserve_flat_scratch 0
		.amdhsa_float_round_mode_32 0
		.amdhsa_float_round_mode_16_64 0
		.amdhsa_float_denorm_mode_32 3
		.amdhsa_float_denorm_mode_16_64 3
		.amdhsa_dx10_clamp 1
		.amdhsa_ieee_mode 1
		.amdhsa_fp16_overflow 0
		.amdhsa_exception_fp_ieee_invalid_op 0
		.amdhsa_exception_fp_denorm_src 0
		.amdhsa_exception_fp_ieee_div_zero 0
		.amdhsa_exception_fp_ieee_overflow 0
		.amdhsa_exception_fp_ieee_underflow 0
		.amdhsa_exception_fp_ieee_inexact 0
		.amdhsa_exception_int_div_zero 0
	.end_amdhsa_kernel
	.section	.text._ZN9rocsolver6v33100L16reset_batch_infoIfiiPfEEvT2_lT0_T1_,"axG",@progbits,_ZN9rocsolver6v33100L16reset_batch_infoIfiiPfEEvT2_lT0_T1_,comdat
.Lfunc_end2:
	.size	_ZN9rocsolver6v33100L16reset_batch_infoIfiiPfEEvT2_lT0_T1_, .Lfunc_end2-_ZN9rocsolver6v33100L16reset_batch_infoIfiiPfEEvT2_lT0_T1_
                                        ; -- End function
	.set _ZN9rocsolver6v33100L16reset_batch_infoIfiiPfEEvT2_lT0_T1_.num_vgpr, 4
	.set _ZN9rocsolver6v33100L16reset_batch_infoIfiiPfEEvT2_lT0_T1_.num_agpr, 0
	.set _ZN9rocsolver6v33100L16reset_batch_infoIfiiPfEEvT2_lT0_T1_.numbered_sgpr, 12
	.set _ZN9rocsolver6v33100L16reset_batch_infoIfiiPfEEvT2_lT0_T1_.num_named_barrier, 0
	.set _ZN9rocsolver6v33100L16reset_batch_infoIfiiPfEEvT2_lT0_T1_.private_seg_size, 0
	.set _ZN9rocsolver6v33100L16reset_batch_infoIfiiPfEEvT2_lT0_T1_.uses_vcc, 1
	.set _ZN9rocsolver6v33100L16reset_batch_infoIfiiPfEEvT2_lT0_T1_.uses_flat_scratch, 0
	.set _ZN9rocsolver6v33100L16reset_batch_infoIfiiPfEEvT2_lT0_T1_.has_dyn_sized_stack, 0
	.set _ZN9rocsolver6v33100L16reset_batch_infoIfiiPfEEvT2_lT0_T1_.has_recursion, 0
	.set _ZN9rocsolver6v33100L16reset_batch_infoIfiiPfEEvT2_lT0_T1_.has_indirect_call, 0
	.section	.AMDGPU.csdata,"",@progbits
; Kernel info:
; codeLenInByte = 140
; TotalNumSgprs: 16
; NumVgprs: 4
; ScratchSize: 0
; MemoryBound: 0
; FloatMode: 240
; IeeeMode: 1
; LDSByteSize: 0 bytes/workgroup (compile time only)
; SGPRBlocks: 1
; VGPRBlocks: 0
; NumSGPRsForWavesPerEU: 16
; NumVGPRsForWavesPerEU: 4
; Occupancy: 10
; WaveLimiterHint : 0
; COMPUTE_PGM_RSRC2:SCRATCH_EN: 0
; COMPUTE_PGM_RSRC2:USER_SGPR: 6
; COMPUTE_PGM_RSRC2:TRAP_HANDLER: 0
; COMPUTE_PGM_RSRC2:TGID_X_EN: 1
; COMPUTE_PGM_RSRC2:TGID_Y_EN: 1
; COMPUTE_PGM_RSRC2:TGID_Z_EN: 0
; COMPUTE_PGM_RSRC2:TIDIG_COMP_CNT: 0
	.section	.text._ZN9rocsolver6v33100L8set_diagIfifPKPfTnNSt9enable_ifIXoont18rocblas_is_complexIT_E18rocblas_is_complexIT1_EEiE4typeELi0EEEvPS7_llT2_lT0_lSC_b,"axG",@progbits,_ZN9rocsolver6v33100L8set_diagIfifPKPfTnNSt9enable_ifIXoont18rocblas_is_complexIT_E18rocblas_is_complexIT1_EEiE4typeELi0EEEvPS7_llT2_lT0_lSC_b,comdat
	.globl	_ZN9rocsolver6v33100L8set_diagIfifPKPfTnNSt9enable_ifIXoont18rocblas_is_complexIT_E18rocblas_is_complexIT1_EEiE4typeELi0EEEvPS7_llT2_lT0_lSC_b ; -- Begin function _ZN9rocsolver6v33100L8set_diagIfifPKPfTnNSt9enable_ifIXoont18rocblas_is_complexIT_E18rocblas_is_complexIT1_EEiE4typeELi0EEEvPS7_llT2_lT0_lSC_b
	.p2align	8
	.type	_ZN9rocsolver6v33100L8set_diagIfifPKPfTnNSt9enable_ifIXoont18rocblas_is_complexIT_E18rocblas_is_complexIT1_EEiE4typeELi0EEEvPS7_llT2_lT0_lSC_b,@function
_ZN9rocsolver6v33100L8set_diagIfifPKPfTnNSt9enable_ifIXoont18rocblas_is_complexIT_E18rocblas_is_complexIT1_EEiE4typeELi0EEEvPS7_llT2_lT0_lSC_b: ; @_ZN9rocsolver6v33100L8set_diagIfifPKPfTnNSt9enable_ifIXoont18rocblas_is_complexIT_E18rocblas_is_complexIT1_EEiE4typeELi0EEEvPS7_llT2_lT0_lSC_b
; %bb.0:
	s_load_dword s2, s[4:5], 0x4c
	s_load_dwordx2 s[0:1], s[4:5], 0x38
	s_waitcnt lgkmcnt(0)
	s_lshr_b32 s2, s2, 16
	s_mul_i32 s7, s7, s2
	v_add_u32_e32 v0, s7, v1
	v_cmp_gt_i32_e32 vcc, s0, v0
	s_and_saveexec_b64 s[2:3], vcc
	s_cbranch_execz .LBB3_2
; %bb.1:
	s_load_dwordx8 s[8:15], s[4:5], 0x0
	s_load_dwordx2 s[2:3], s[4:5], 0x20
	s_load_dword s16, s[4:5], 0x28
	s_bitcmp1_b32 s1, 0
	s_cselect_b64 s[0:1], -1, 0
	s_ashr_i32 s7, s6, 31
	s_lshl_b64 s[4:5], s[6:7], 3
	s_waitcnt lgkmcnt(0)
	s_add_u32 s4, s14, s4
	s_addc_u32 s5, s15, s5
	s_load_dwordx2 s[4:5], s[4:5], 0x0
	v_mad_u64_u32 v[1:2], s[14:15], v0, s16, v[0:1]
	s_lshl_b64 s[2:3], s[2:3], 2
	v_ashrrev_i32_e32 v2, 31, v1
	s_waitcnt lgkmcnt(0)
	s_add_u32 s2, s4, s2
	v_lshlrev_b64 v[1:2], 2, v[1:2]
	s_addc_u32 s3, s5, s3
	v_mov_b32_e32 v4, s3
	v_add_co_u32_e32 v3, vcc, s2, v1
	v_addc_co_u32_e32 v4, vcc, v4, v2, vcc
	flat_load_dword v2, v[3:4]
	s_mul_hi_u32 s3, s12, s6
	s_mul_i32 s4, s12, s7
	s_mul_i32 s5, s13, s6
	s_add_i32 s3, s3, s4
	s_mul_i32 s2, s12, s6
	s_add_i32 s3, s3, s5
	s_lshl_b64 s[2:3], s[2:3], 2
	s_add_u32 s4, s8, s2
	v_ashrrev_i32_e32 v1, 31, v0
	s_addc_u32 s5, s9, s3
	s_lshl_b64 s[2:3], s[10:11], 2
	v_lshlrev_b64 v[0:1], 2, v[0:1]
	s_add_u32 s2, s4, s2
	s_addc_u32 s3, s5, s3
	v_mov_b32_e32 v5, s3
	v_add_co_u32_e32 v0, vcc, s2, v0
	v_addc_co_u32_e32 v1, vcc, v5, v1, vcc
	s_waitcnt vmcnt(0) lgkmcnt(0)
	global_store_dword v[0:1], v2, off
	v_cndmask_b32_e64 v0, v2, 1.0, s[0:1]
	flat_store_dword v[3:4], v0
.LBB3_2:
	s_endpgm
	.section	.rodata,"a",@progbits
	.p2align	6, 0x0
	.amdhsa_kernel _ZN9rocsolver6v33100L8set_diagIfifPKPfTnNSt9enable_ifIXoont18rocblas_is_complexIT_E18rocblas_is_complexIT1_EEiE4typeELi0EEEvPS7_llT2_lT0_lSC_b
		.amdhsa_group_segment_fixed_size 0
		.amdhsa_private_segment_fixed_size 0
		.amdhsa_kernarg_size 320
		.amdhsa_user_sgpr_count 6
		.amdhsa_user_sgpr_private_segment_buffer 1
		.amdhsa_user_sgpr_dispatch_ptr 0
		.amdhsa_user_sgpr_queue_ptr 0
		.amdhsa_user_sgpr_kernarg_segment_ptr 1
		.amdhsa_user_sgpr_dispatch_id 0
		.amdhsa_user_sgpr_flat_scratch_init 0
		.amdhsa_user_sgpr_private_segment_size 0
		.amdhsa_uses_dynamic_stack 0
		.amdhsa_system_sgpr_private_segment_wavefront_offset 0
		.amdhsa_system_sgpr_workgroup_id_x 1
		.amdhsa_system_sgpr_workgroup_id_y 1
		.amdhsa_system_sgpr_workgroup_id_z 0
		.amdhsa_system_sgpr_workgroup_info 0
		.amdhsa_system_vgpr_workitem_id 1
		.amdhsa_next_free_vgpr 6
		.amdhsa_next_free_sgpr 17
		.amdhsa_reserve_vcc 1
		.amdhsa_reserve_flat_scratch 0
		.amdhsa_float_round_mode_32 0
		.amdhsa_float_round_mode_16_64 0
		.amdhsa_float_denorm_mode_32 3
		.amdhsa_float_denorm_mode_16_64 3
		.amdhsa_dx10_clamp 1
		.amdhsa_ieee_mode 1
		.amdhsa_fp16_overflow 0
		.amdhsa_exception_fp_ieee_invalid_op 0
		.amdhsa_exception_fp_denorm_src 0
		.amdhsa_exception_fp_ieee_div_zero 0
		.amdhsa_exception_fp_ieee_overflow 0
		.amdhsa_exception_fp_ieee_underflow 0
		.amdhsa_exception_fp_ieee_inexact 0
		.amdhsa_exception_int_div_zero 0
	.end_amdhsa_kernel
	.section	.text._ZN9rocsolver6v33100L8set_diagIfifPKPfTnNSt9enable_ifIXoont18rocblas_is_complexIT_E18rocblas_is_complexIT1_EEiE4typeELi0EEEvPS7_llT2_lT0_lSC_b,"axG",@progbits,_ZN9rocsolver6v33100L8set_diagIfifPKPfTnNSt9enable_ifIXoont18rocblas_is_complexIT_E18rocblas_is_complexIT1_EEiE4typeELi0EEEvPS7_llT2_lT0_lSC_b,comdat
.Lfunc_end3:
	.size	_ZN9rocsolver6v33100L8set_diagIfifPKPfTnNSt9enable_ifIXoont18rocblas_is_complexIT_E18rocblas_is_complexIT1_EEiE4typeELi0EEEvPS7_llT2_lT0_lSC_b, .Lfunc_end3-_ZN9rocsolver6v33100L8set_diagIfifPKPfTnNSt9enable_ifIXoont18rocblas_is_complexIT_E18rocblas_is_complexIT1_EEiE4typeELi0EEEvPS7_llT2_lT0_lSC_b
                                        ; -- End function
	.set _ZN9rocsolver6v33100L8set_diagIfifPKPfTnNSt9enable_ifIXoont18rocblas_is_complexIT_E18rocblas_is_complexIT1_EEiE4typeELi0EEEvPS7_llT2_lT0_lSC_b.num_vgpr, 6
	.set _ZN9rocsolver6v33100L8set_diagIfifPKPfTnNSt9enable_ifIXoont18rocblas_is_complexIT_E18rocblas_is_complexIT1_EEiE4typeELi0EEEvPS7_llT2_lT0_lSC_b.num_agpr, 0
	.set _ZN9rocsolver6v33100L8set_diagIfifPKPfTnNSt9enable_ifIXoont18rocblas_is_complexIT_E18rocblas_is_complexIT1_EEiE4typeELi0EEEvPS7_llT2_lT0_lSC_b.numbered_sgpr, 17
	.set _ZN9rocsolver6v33100L8set_diagIfifPKPfTnNSt9enable_ifIXoont18rocblas_is_complexIT_E18rocblas_is_complexIT1_EEiE4typeELi0EEEvPS7_llT2_lT0_lSC_b.num_named_barrier, 0
	.set _ZN9rocsolver6v33100L8set_diagIfifPKPfTnNSt9enable_ifIXoont18rocblas_is_complexIT_E18rocblas_is_complexIT1_EEiE4typeELi0EEEvPS7_llT2_lT0_lSC_b.private_seg_size, 0
	.set _ZN9rocsolver6v33100L8set_diagIfifPKPfTnNSt9enable_ifIXoont18rocblas_is_complexIT_E18rocblas_is_complexIT1_EEiE4typeELi0EEEvPS7_llT2_lT0_lSC_b.uses_vcc, 1
	.set _ZN9rocsolver6v33100L8set_diagIfifPKPfTnNSt9enable_ifIXoont18rocblas_is_complexIT_E18rocblas_is_complexIT1_EEiE4typeELi0EEEvPS7_llT2_lT0_lSC_b.uses_flat_scratch, 0
	.set _ZN9rocsolver6v33100L8set_diagIfifPKPfTnNSt9enable_ifIXoont18rocblas_is_complexIT_E18rocblas_is_complexIT1_EEiE4typeELi0EEEvPS7_llT2_lT0_lSC_b.has_dyn_sized_stack, 0
	.set _ZN9rocsolver6v33100L8set_diagIfifPKPfTnNSt9enable_ifIXoont18rocblas_is_complexIT_E18rocblas_is_complexIT1_EEiE4typeELi0EEEvPS7_llT2_lT0_lSC_b.has_recursion, 0
	.set _ZN9rocsolver6v33100L8set_diagIfifPKPfTnNSt9enable_ifIXoont18rocblas_is_complexIT_E18rocblas_is_complexIT1_EEiE4typeELi0EEEvPS7_llT2_lT0_lSC_b.has_indirect_call, 0
	.section	.AMDGPU.csdata,"",@progbits
; Kernel info:
; codeLenInByte = 264
; TotalNumSgprs: 21
; NumVgprs: 6
; ScratchSize: 0
; MemoryBound: 0
; FloatMode: 240
; IeeeMode: 1
; LDSByteSize: 0 bytes/workgroup (compile time only)
; SGPRBlocks: 2
; VGPRBlocks: 1
; NumSGPRsForWavesPerEU: 21
; NumVGPRsForWavesPerEU: 6
; Occupancy: 10
; WaveLimiterHint : 1
; COMPUTE_PGM_RSRC2:SCRATCH_EN: 0
; COMPUTE_PGM_RSRC2:USER_SGPR: 6
; COMPUTE_PGM_RSRC2:TRAP_HANDLER: 0
; COMPUTE_PGM_RSRC2:TGID_X_EN: 1
; COMPUTE_PGM_RSRC2:TGID_Y_EN: 1
; COMPUTE_PGM_RSRC2:TGID_Z_EN: 0
; COMPUTE_PGM_RSRC2:TIDIG_COMP_CNT: 1
	.section	.text._ZN9rocsolver6v33100L11set_taubetaIfifPKPfEEvPT_lS6_T2_llPT1_ll,"axG",@progbits,_ZN9rocsolver6v33100L11set_taubetaIfifPKPfEEvPT_lS6_T2_llPT1_ll,comdat
	.globl	_ZN9rocsolver6v33100L11set_taubetaIfifPKPfEEvPT_lS6_T2_llPT1_ll ; -- Begin function _ZN9rocsolver6v33100L11set_taubetaIfifPKPfEEvPT_lS6_T2_llPT1_ll
	.p2align	8
	.type	_ZN9rocsolver6v33100L11set_taubetaIfifPKPfEEvPT_lS6_T2_llPT1_ll,@function
_ZN9rocsolver6v33100L11set_taubetaIfifPKPfEEvPT_lS6_T2_llPT1_ll: ; @_ZN9rocsolver6v33100L11set_taubetaIfifPKPfEEvPT_lS6_T2_llPT1_ll
; %bb.0:
	s_load_dwordx8 s[8:15], s[4:5], 0x0
	s_load_dwordx2 s[18:19], s[4:5], 0x20
	s_load_dwordx4 s[0:3], s[4:5], 0x30
	s_ashr_i32 s7, s6, 31
	s_lshl_b64 s[16:17], s[6:7], 3
	s_waitcnt lgkmcnt(0)
	s_add_u32 s14, s14, s16
	s_addc_u32 s15, s15, s17
	s_load_dwordx2 s[20:21], s[14:15], 0x0
	s_mov_b64 s[16:17], 0
	s_cmp_eq_u64 s[0:1], 0
	s_mov_b64 s[14:15], 0
	s_cbranch_scc1 .LBB4_2
; %bb.1:
	s_load_dwordx2 s[4:5], s[4:5], 0x40
	s_waitcnt lgkmcnt(0)
	s_mul_i32 s14, s4, s7
	s_mul_hi_u32 s15, s4, s6
	s_mul_i32 s5, s5, s6
	s_add_i32 s14, s15, s14
	s_mul_i32 s4, s4, s6
	s_add_i32 s5, s14, s5
	s_lshl_b64 s[4:5], s[4:5], 2
	s_add_u32 s4, s0, s4
	s_addc_u32 s5, s1, s5
	s_lshl_b64 s[0:1], s[2:3], 2
	s_add_u32 s14, s4, s0
	s_addc_u32 s15, s5, s1
.LBB4_2:
	s_lshl_b64 s[0:1], s[18:19], 2
	s_waitcnt lgkmcnt(0)
	s_add_u32 s2, s20, s0
	s_addc_u32 s3, s21, s1
	s_mul_i32 s0, s10, s7
	s_mul_hi_u32 s1, s10, s6
	s_add_i32 s0, s1, s0
	s_mul_i32 s1, s11, s6
	s_add_i32 s1, s0, s1
	s_mul_i32 s0, s10, s6
	s_lshl_b64 s[0:1], s[0:1], 2
	s_add_u32 s8, s8, s0
	s_addc_u32 s9, s9, s1
	s_lshl_b64 s[0:1], s[6:7], 2
	s_add_u32 s10, s12, s0
	s_addc_u32 s11, s13, s1
	s_load_dword s12, s[10:11], 0x0
	s_cmp_eq_u64 s[14:15], 0
	s_cselect_b64 s[4:5], -1, 0
	s_cmp_lg_u64 s[14:15], 0
	s_cselect_b64 s[6:7], -1, 0
	s_waitcnt lgkmcnt(0)
	v_cmp_ngt_f32_e64 s[0:1], s12, 0
	s_and_b64 vcc, exec, s[0:1]
	s_cbranch_vccz .LBB4_7
; %bb.3:
	v_mov_b32_e32 v0, 1.0
	v_mov_b32_e32 v1, 0
	s_mov_b64 s[0:1], 0
	s_and_b64 vcc, exec, s[6:7]
	global_store_dword v1, v0, s[10:11]
	global_store_dword v1, v1, s[8:9]
                                        ; implicit-def: $vgpr0
	s_cbranch_vccz .LBB4_5
; %bb.4:
	v_mov_b32_e32 v0, s2
	v_mov_b32_e32 v1, s3
	flat_load_dword v0, v[0:1]
	s_mov_b64 s[16:17], -1
.LBB4_5:
	s_and_b64 vcc, exec, s[0:1]
	s_cbranch_vccz .LBB4_8
.LBB4_6:
	v_mov_b32_e32 v1, s2
	v_mov_b32_e32 v2, s3
	flat_load_dword v3, v[1:2]
	s_mov_b32 s0, 0xf800000
	v_mov_b32_e32 v5, 0x260
	s_mov_b64 s[16:17], s[6:7]
	s_waitcnt vmcnt(0) lgkmcnt(0)
	v_fma_f32 v0, v3, v3, s12
	v_mul_f32_e32 v4, 0x4f800000, v0
	v_cmp_gt_f32_e32 vcc, s0, v0
	v_cndmask_b32_e32 v0, v0, v4, vcc
	v_sqrt_f32_e32 v4, v0
	v_add_u32_e32 v6, -1, v4
	v_add_u32_e32 v7, 1, v4
	v_fma_f32 v8, -v6, v4, v0
	v_fma_f32 v9, -v7, v4, v0
	v_cmp_ge_f32_e64 s[0:1], 0, v8
	v_cndmask_b32_e64 v4, v4, v6, s[0:1]
	v_cmp_lt_f32_e64 s[0:1], 0, v9
	v_cndmask_b32_e64 v4, v4, v7, s[0:1]
	v_mul_f32_e32 v6, 0x37800000, v4
	v_cndmask_b32_e32 v4, v4, v6, vcc
	v_cmp_class_f32_e32 vcc, v0, v5
	v_cndmask_b32_e32 v0, v4, v0, vcc
	v_cmp_le_f32_e32 vcc, 0, v3
	v_cndmask_b32_e64 v0, v0, -v0, vcc
	v_sub_f32_e32 v3, v3, v0
	v_div_scale_f32 v4, s[0:1], v3, v3, 1.0
	v_div_scale_f32 v5, vcc, 1.0, v3, 1.0
	v_rcp_f32_e32 v6, v4
	v_fma_f32 v7, -v4, v6, 1.0
	v_fmac_f32_e32 v6, v7, v6
	v_mul_f32_e32 v7, v5, v6
	v_fma_f32 v8, -v4, v7, v5
	v_fmac_f32_e32 v7, v8, v6
	v_fma_f32 v4, -v4, v7, v5
	v_div_fmas_f32 v4, v4, v6, v7
	v_mov_b32_e32 v5, 0
	v_div_fixup_f32 v3, v4, v3, 1.0
	global_store_dword v5, v3, s[10:11]
	flat_load_dword v1, v[1:2]
	s_waitcnt vmcnt(0) lgkmcnt(0)
	v_sub_f32_e32 v1, v0, v1
	v_div_scale_f32 v2, s[0:1], v0, v0, v1
	v_div_scale_f32 v3, vcc, v1, v0, v1
	v_rcp_f32_e32 v4, v2
	v_fma_f32 v6, -v2, v4, 1.0
	v_fmac_f32_e32 v4, v6, v4
	v_mul_f32_e32 v6, v3, v4
	v_fma_f32 v7, -v2, v6, v3
	v_fmac_f32_e32 v6, v7, v4
	v_fma_f32 v2, -v2, v6, v3
	v_div_fmas_f32 v2, v2, v4, v6
	v_div_fixup_f32 v1, v2, v0, v1
	global_store_dword v5, v1, s[8:9]
	s_andn2_b64 vcc, exec, s[16:17]
	s_cbranch_vccz .LBB4_9
	s_branch .LBB4_10
.LBB4_7:
                                        ; implicit-def: $vgpr0
	s_cbranch_execnz .LBB4_6
.LBB4_8:
	s_mov_b64 s[4:5], 0
	s_andn2_b64 vcc, exec, s[16:17]
	s_cbranch_vccnz .LBB4_10
.LBB4_9:
	v_mov_b32_e32 v1, 0
	s_waitcnt vmcnt(0) lgkmcnt(0)
	global_store_dword v1, v0, s[14:15]
	s_mov_b64 s[4:5], -1
	v_mov_b32_e32 v0, 1.0
.LBB4_10:
	s_andn2_b64 vcc, exec, s[4:5]
	s_cbranch_vccz .LBB4_12
; %bb.11:
	s_endpgm
.LBB4_12:
	v_mov_b32_e32 v1, s2
	v_mov_b32_e32 v2, s3
	s_waitcnt vmcnt(0) lgkmcnt(0)
	flat_store_dword v[1:2], v0
	s_endpgm
	.section	.rodata,"a",@progbits
	.p2align	6, 0x0
	.amdhsa_kernel _ZN9rocsolver6v33100L11set_taubetaIfifPKPfEEvPT_lS6_T2_llPT1_ll
		.amdhsa_group_segment_fixed_size 0
		.amdhsa_private_segment_fixed_size 0
		.amdhsa_kernarg_size 72
		.amdhsa_user_sgpr_count 6
		.amdhsa_user_sgpr_private_segment_buffer 1
		.amdhsa_user_sgpr_dispatch_ptr 0
		.amdhsa_user_sgpr_queue_ptr 0
		.amdhsa_user_sgpr_kernarg_segment_ptr 1
		.amdhsa_user_sgpr_dispatch_id 0
		.amdhsa_user_sgpr_flat_scratch_init 0
		.amdhsa_user_sgpr_private_segment_size 0
		.amdhsa_uses_dynamic_stack 0
		.amdhsa_system_sgpr_private_segment_wavefront_offset 0
		.amdhsa_system_sgpr_workgroup_id_x 1
		.amdhsa_system_sgpr_workgroup_id_y 0
		.amdhsa_system_sgpr_workgroup_id_z 0
		.amdhsa_system_sgpr_workgroup_info 0
		.amdhsa_system_vgpr_workitem_id 0
		.amdhsa_next_free_vgpr 10
		.amdhsa_next_free_sgpr 22
		.amdhsa_reserve_vcc 1
		.amdhsa_reserve_flat_scratch 0
		.amdhsa_float_round_mode_32 0
		.amdhsa_float_round_mode_16_64 0
		.amdhsa_float_denorm_mode_32 3
		.amdhsa_float_denorm_mode_16_64 3
		.amdhsa_dx10_clamp 1
		.amdhsa_ieee_mode 1
		.amdhsa_fp16_overflow 0
		.amdhsa_exception_fp_ieee_invalid_op 0
		.amdhsa_exception_fp_denorm_src 0
		.amdhsa_exception_fp_ieee_div_zero 0
		.amdhsa_exception_fp_ieee_overflow 0
		.amdhsa_exception_fp_ieee_underflow 0
		.amdhsa_exception_fp_ieee_inexact 0
		.amdhsa_exception_int_div_zero 0
	.end_amdhsa_kernel
	.section	.text._ZN9rocsolver6v33100L11set_taubetaIfifPKPfEEvPT_lS6_T2_llPT1_ll,"axG",@progbits,_ZN9rocsolver6v33100L11set_taubetaIfifPKPfEEvPT_lS6_T2_llPT1_ll,comdat
.Lfunc_end4:
	.size	_ZN9rocsolver6v33100L11set_taubetaIfifPKPfEEvPT_lS6_T2_llPT1_ll, .Lfunc_end4-_ZN9rocsolver6v33100L11set_taubetaIfifPKPfEEvPT_lS6_T2_llPT1_ll
                                        ; -- End function
	.set _ZN9rocsolver6v33100L11set_taubetaIfifPKPfEEvPT_lS6_T2_llPT1_ll.num_vgpr, 10
	.set _ZN9rocsolver6v33100L11set_taubetaIfifPKPfEEvPT_lS6_T2_llPT1_ll.num_agpr, 0
	.set _ZN9rocsolver6v33100L11set_taubetaIfifPKPfEEvPT_lS6_T2_llPT1_ll.numbered_sgpr, 22
	.set _ZN9rocsolver6v33100L11set_taubetaIfifPKPfEEvPT_lS6_T2_llPT1_ll.num_named_barrier, 0
	.set _ZN9rocsolver6v33100L11set_taubetaIfifPKPfEEvPT_lS6_T2_llPT1_ll.private_seg_size, 0
	.set _ZN9rocsolver6v33100L11set_taubetaIfifPKPfEEvPT_lS6_T2_llPT1_ll.uses_vcc, 1
	.set _ZN9rocsolver6v33100L11set_taubetaIfifPKPfEEvPT_lS6_T2_llPT1_ll.uses_flat_scratch, 0
	.set _ZN9rocsolver6v33100L11set_taubetaIfifPKPfEEvPT_lS6_T2_llPT1_ll.has_dyn_sized_stack, 0
	.set _ZN9rocsolver6v33100L11set_taubetaIfifPKPfEEvPT_lS6_T2_llPT1_ll.has_recursion, 0
	.set _ZN9rocsolver6v33100L11set_taubetaIfifPKPfEEvPT_lS6_T2_llPT1_ll.has_indirect_call, 0
	.section	.AMDGPU.csdata,"",@progbits
; Kernel info:
; codeLenInByte = 728
; TotalNumSgprs: 26
; NumVgprs: 10
; ScratchSize: 0
; MemoryBound: 0
; FloatMode: 240
; IeeeMode: 1
; LDSByteSize: 0 bytes/workgroup (compile time only)
; SGPRBlocks: 3
; VGPRBlocks: 2
; NumSGPRsForWavesPerEU: 26
; NumVGPRsForWavesPerEU: 10
; Occupancy: 10
; WaveLimiterHint : 1
; COMPUTE_PGM_RSRC2:SCRATCH_EN: 0
; COMPUTE_PGM_RSRC2:USER_SGPR: 6
; COMPUTE_PGM_RSRC2:TRAP_HANDLER: 0
; COMPUTE_PGM_RSRC2:TGID_X_EN: 1
; COMPUTE_PGM_RSRC2:TGID_Y_EN: 0
; COMPUTE_PGM_RSRC2:TGID_Z_EN: 0
; COMPUTE_PGM_RSRC2:TIDIG_COMP_CNT: 0
	.section	.text._ZN9rocsolver6v33100L13conj_in_placeIfiPfTnNSt9enable_ifIXnt18rocblas_is_complexIT_EEiE4typeELi0EEEvT0_S7_T1_lS7_l,"axG",@progbits,_ZN9rocsolver6v33100L13conj_in_placeIfiPfTnNSt9enable_ifIXnt18rocblas_is_complexIT_EEiE4typeELi0EEEvT0_S7_T1_lS7_l,comdat
	.globl	_ZN9rocsolver6v33100L13conj_in_placeIfiPfTnNSt9enable_ifIXnt18rocblas_is_complexIT_EEiE4typeELi0EEEvT0_S7_T1_lS7_l ; -- Begin function _ZN9rocsolver6v33100L13conj_in_placeIfiPfTnNSt9enable_ifIXnt18rocblas_is_complexIT_EEiE4typeELi0EEEvT0_S7_T1_lS7_l
	.p2align	8
	.type	_ZN9rocsolver6v33100L13conj_in_placeIfiPfTnNSt9enable_ifIXnt18rocblas_is_complexIT_EEiE4typeELi0EEEvT0_S7_T1_lS7_l,@function
_ZN9rocsolver6v33100L13conj_in_placeIfiPfTnNSt9enable_ifIXnt18rocblas_is_complexIT_EEiE4typeELi0EEEvT0_S7_T1_lS7_l: ; @_ZN9rocsolver6v33100L13conj_in_placeIfiPfTnNSt9enable_ifIXnt18rocblas_is_complexIT_EEiE4typeELi0EEEvT0_S7_T1_lS7_l
; %bb.0:
	s_endpgm
	.section	.rodata,"a",@progbits
	.p2align	6, 0x0
	.amdhsa_kernel _ZN9rocsolver6v33100L13conj_in_placeIfiPfTnNSt9enable_ifIXnt18rocblas_is_complexIT_EEiE4typeELi0EEEvT0_S7_T1_lS7_l
		.amdhsa_group_segment_fixed_size 0
		.amdhsa_private_segment_fixed_size 0
		.amdhsa_kernarg_size 40
		.amdhsa_user_sgpr_count 6
		.amdhsa_user_sgpr_private_segment_buffer 1
		.amdhsa_user_sgpr_dispatch_ptr 0
		.amdhsa_user_sgpr_queue_ptr 0
		.amdhsa_user_sgpr_kernarg_segment_ptr 1
		.amdhsa_user_sgpr_dispatch_id 0
		.amdhsa_user_sgpr_flat_scratch_init 0
		.amdhsa_user_sgpr_private_segment_size 0
		.amdhsa_uses_dynamic_stack 0
		.amdhsa_system_sgpr_private_segment_wavefront_offset 0
		.amdhsa_system_sgpr_workgroup_id_x 1
		.amdhsa_system_sgpr_workgroup_id_y 0
		.amdhsa_system_sgpr_workgroup_id_z 0
		.amdhsa_system_sgpr_workgroup_info 0
		.amdhsa_system_vgpr_workitem_id 0
		.amdhsa_next_free_vgpr 1
		.amdhsa_next_free_sgpr 0
		.amdhsa_reserve_vcc 0
		.amdhsa_reserve_flat_scratch 0
		.amdhsa_float_round_mode_32 0
		.amdhsa_float_round_mode_16_64 0
		.amdhsa_float_denorm_mode_32 3
		.amdhsa_float_denorm_mode_16_64 3
		.amdhsa_dx10_clamp 1
		.amdhsa_ieee_mode 1
		.amdhsa_fp16_overflow 0
		.amdhsa_exception_fp_ieee_invalid_op 0
		.amdhsa_exception_fp_denorm_src 0
		.amdhsa_exception_fp_ieee_div_zero 0
		.amdhsa_exception_fp_ieee_overflow 0
		.amdhsa_exception_fp_ieee_underflow 0
		.amdhsa_exception_fp_ieee_inexact 0
		.amdhsa_exception_int_div_zero 0
	.end_amdhsa_kernel
	.section	.text._ZN9rocsolver6v33100L13conj_in_placeIfiPfTnNSt9enable_ifIXnt18rocblas_is_complexIT_EEiE4typeELi0EEEvT0_S7_T1_lS7_l,"axG",@progbits,_ZN9rocsolver6v33100L13conj_in_placeIfiPfTnNSt9enable_ifIXnt18rocblas_is_complexIT_EEiE4typeELi0EEEvT0_S7_T1_lS7_l,comdat
.Lfunc_end5:
	.size	_ZN9rocsolver6v33100L13conj_in_placeIfiPfTnNSt9enable_ifIXnt18rocblas_is_complexIT_EEiE4typeELi0EEEvT0_S7_T1_lS7_l, .Lfunc_end5-_ZN9rocsolver6v33100L13conj_in_placeIfiPfTnNSt9enable_ifIXnt18rocblas_is_complexIT_EEiE4typeELi0EEEvT0_S7_T1_lS7_l
                                        ; -- End function
	.set _ZN9rocsolver6v33100L13conj_in_placeIfiPfTnNSt9enable_ifIXnt18rocblas_is_complexIT_EEiE4typeELi0EEEvT0_S7_T1_lS7_l.num_vgpr, 0
	.set _ZN9rocsolver6v33100L13conj_in_placeIfiPfTnNSt9enable_ifIXnt18rocblas_is_complexIT_EEiE4typeELi0EEEvT0_S7_T1_lS7_l.num_agpr, 0
	.set _ZN9rocsolver6v33100L13conj_in_placeIfiPfTnNSt9enable_ifIXnt18rocblas_is_complexIT_EEiE4typeELi0EEEvT0_S7_T1_lS7_l.numbered_sgpr, 0
	.set _ZN9rocsolver6v33100L13conj_in_placeIfiPfTnNSt9enable_ifIXnt18rocblas_is_complexIT_EEiE4typeELi0EEEvT0_S7_T1_lS7_l.num_named_barrier, 0
	.set _ZN9rocsolver6v33100L13conj_in_placeIfiPfTnNSt9enable_ifIXnt18rocblas_is_complexIT_EEiE4typeELi0EEEvT0_S7_T1_lS7_l.private_seg_size, 0
	.set _ZN9rocsolver6v33100L13conj_in_placeIfiPfTnNSt9enable_ifIXnt18rocblas_is_complexIT_EEiE4typeELi0EEEvT0_S7_T1_lS7_l.uses_vcc, 0
	.set _ZN9rocsolver6v33100L13conj_in_placeIfiPfTnNSt9enable_ifIXnt18rocblas_is_complexIT_EEiE4typeELi0EEEvT0_S7_T1_lS7_l.uses_flat_scratch, 0
	.set _ZN9rocsolver6v33100L13conj_in_placeIfiPfTnNSt9enable_ifIXnt18rocblas_is_complexIT_EEiE4typeELi0EEEvT0_S7_T1_lS7_l.has_dyn_sized_stack, 0
	.set _ZN9rocsolver6v33100L13conj_in_placeIfiPfTnNSt9enable_ifIXnt18rocblas_is_complexIT_EEiE4typeELi0EEEvT0_S7_T1_lS7_l.has_recursion, 0
	.set _ZN9rocsolver6v33100L13conj_in_placeIfiPfTnNSt9enable_ifIXnt18rocblas_is_complexIT_EEiE4typeELi0EEEvT0_S7_T1_lS7_l.has_indirect_call, 0
	.section	.AMDGPU.csdata,"",@progbits
; Kernel info:
; codeLenInByte = 4
; TotalNumSgprs: 4
; NumVgprs: 0
; ScratchSize: 0
; MemoryBound: 0
; FloatMode: 240
; IeeeMode: 1
; LDSByteSize: 0 bytes/workgroup (compile time only)
; SGPRBlocks: 0
; VGPRBlocks: 0
; NumSGPRsForWavesPerEU: 4
; NumVGPRsForWavesPerEU: 1
; Occupancy: 10
; WaveLimiterHint : 0
; COMPUTE_PGM_RSRC2:SCRATCH_EN: 0
; COMPUTE_PGM_RSRC2:USER_SGPR: 6
; COMPUTE_PGM_RSRC2:TRAP_HANDLER: 0
; COMPUTE_PGM_RSRC2:TGID_X_EN: 1
; COMPUTE_PGM_RSRC2:TGID_Y_EN: 0
; COMPUTE_PGM_RSRC2:TGID_Z_EN: 0
; COMPUTE_PGM_RSRC2:TIDIG_COMP_CNT: 0
	.section	.text._ZN9rocsolver6v33100L16larf_left_kernelILi1024EfiPKPfEEvT1_S5_T2_lS5_lPKT0_lS6_lS5_l,"axG",@progbits,_ZN9rocsolver6v33100L16larf_left_kernelILi1024EfiPKPfEEvT1_S5_T2_lS5_lPKT0_lS6_lS5_l,comdat
	.globl	_ZN9rocsolver6v33100L16larf_left_kernelILi1024EfiPKPfEEvT1_S5_T2_lS5_lPKT0_lS6_lS5_l ; -- Begin function _ZN9rocsolver6v33100L16larf_left_kernelILi1024EfiPKPfEEvT1_S5_T2_lS5_lPKT0_lS6_lS5_l
	.p2align	8
	.type	_ZN9rocsolver6v33100L16larf_left_kernelILi1024EfiPKPfEEvT1_S5_T2_lS5_lPKT0_lS6_lS5_l,@function
_ZN9rocsolver6v33100L16larf_left_kernelILi1024EfiPKPfEEvT1_S5_T2_lS5_lPKT0_lS6_lS5_l: ; @_ZN9rocsolver6v33100L16larf_left_kernelILi1024EfiPKPfEEvT1_S5_T2_lS5_lPKT0_lS6_lS5_l
; %bb.0:
	s_load_dwordx8 s[12:19], s[4:5], 0x28
	s_load_dword s22, s[4:5], 0x0
	s_load_dword s6, s[4:5], 0x48
	s_ashr_i32 s9, s8, 31
	s_lshl_b64 s[20:21], s[8:9], 3
	s_waitcnt lgkmcnt(0)
	s_add_u32 s0, s16, s20
	s_addc_u32 s1, s17, s21
	s_load_dwordx2 s[2:3], s[0:1], 0x0
	v_cmp_gt_i32_e64 s[0:1], s22, v0
	v_mov_b32_e32 v5, 0
	v_lshlrev_b32_e32 v3, 2, v0
	s_mul_hi_i32 s11, s7, s6
	s_mul_i32 s10, s7, s6
	s_and_saveexec_b64 s[6:7], s[0:1]
	s_cbranch_execz .LBB6_6
; %bb.1:
	s_load_dword s16, s[4:5], 0x18
	s_load_dwordx4 s[24:27], s[4:5], 0x8
	s_sub_i32 s4, 1, s22
	v_add3_u32 v4, v3, 0, 64
	v_mov_b32_e32 v6, v4
	s_waitcnt lgkmcnt(0)
	s_ashr_i32 s17, s16, 31
	s_mul_i32 s23, s16, s4
	v_cmp_lt_i64_e64 s[4:5], s[16:17], 1
	v_mad_i64_i32 v[1:2], s[28:29], s16, v0, 0
	s_and_b64 s[4:5], s[4:5], exec
	s_cselect_b32 s4, s23, 0
	s_ashr_i32 s5, s4, 31
	s_add_u32 s20, s24, s20
	s_addc_u32 s21, s25, s21
	s_load_dwordx2 s[20:21], s[20:21], 0x0
	s_lshl_b64 s[24:25], s[26:27], 2
	s_lshl_b64 s[4:5], s[4:5], 2
	v_lshlrev_b64 v[1:2], 2, v[1:2]
	v_mov_b32_e32 v7, v0
	s_waitcnt lgkmcnt(0)
	s_add_u32 s4, s20, s4
	s_addc_u32 s5, s21, s5
	s_add_u32 s4, s4, s24
	s_addc_u32 s5, s5, s25
	v_mov_b32_e32 v5, s5
	v_add_co_u32_e32 v1, vcc, s4, v1
	s_lshl_b64 s[16:17], s[16:17], 12
	v_addc_co_u32_e32 v2, vcc, v5, v2, vcc
	s_mov_b64 s[4:5], 0
	v_mov_b32_e32 v5, s17
.LBB6_2:                                ; =>This Inner Loop Header: Depth=1
	flat_load_dword v8, v[1:2]
	v_add_co_u32_e32 v1, vcc, s16, v1
	v_add_u32_e32 v7, 0x400, v7
	v_addc_co_u32_e32 v2, vcc, v2, v5, vcc
	v_cmp_le_i32_e32 vcc, s22, v7
	s_or_b64 s[4:5], vcc, s[4:5]
	s_waitcnt vmcnt(0) lgkmcnt(0)
	ds_write_b32 v6, v8
	v_add_u32_e32 v6, 0x1000, v6
	s_andn2_b64 exec, exec, s[4:5]
	s_cbranch_execnz .LBB6_2
; %bb.3:
	s_or_b64 exec, exec, s[4:5]
	s_lshl_b64 s[4:5], s[10:11], 2
	s_lshl_b64 s[16:17], s[18:19], 2
	s_add_u32 s4, s4, s16
	s_addc_u32 s5, s5, s17
	s_add_u32 s4, s2, s4
	v_lshlrev_b32_e32 v1, 2, v0
	s_addc_u32 s5, s3, s5
	v_mov_b32_e32 v2, s5
	v_add_co_u32_e32 v1, vcc, s4, v1
	v_mov_b32_e32 v5, 0
	v_addc_co_u32_e32 v2, vcc, 0, v2, vcc
	s_mov_b64 s[4:5], 0
	v_mov_b32_e32 v6, v0
.LBB6_4:                                ; =>This Inner Loop Header: Depth=1
	flat_load_dword v7, v[1:2]
	ds_read_b32 v8, v4
	v_add_co_u32_e32 v1, vcc, 0x1000, v1
	v_add_u32_e32 v6, 0x400, v6
	v_addc_co_u32_e32 v2, vcc, 0, v2, vcc
	v_cmp_le_i32_e32 vcc, s22, v6
	v_add_u32_e32 v4, 0x1000, v4
	s_or_b64 s[4:5], vcc, s[4:5]
	s_waitcnt vmcnt(0) lgkmcnt(0)
	v_fmac_f32_e32 v5, v7, v8
	s_andn2_b64 exec, exec, s[4:5]
	s_cbranch_execnz .LBB6_4
; %bb.5:
	s_or_b64 exec, exec, s[4:5]
.LBB6_6:
	s_or_b64 exec, exec, s[6:7]
	v_mbcnt_lo_u32_b32 v1, -1, 0
	v_mbcnt_hi_u32_b32 v1, -1, v1
	v_and_b32_e32 v2, 63, v1
	v_cmp_ne_u32_e32 vcc, 63, v2
	v_addc_co_u32_e32 v4, vcc, 0, v1, vcc
	v_lshlrev_b32_e32 v4, 2, v4
	ds_bpermute_b32 v4, v4, v5
	v_cmp_gt_u32_e32 vcc, 62, v2
	v_cndmask_b32_e64 v6, 0, 2, vcc
	v_cmp_gt_u32_e32 vcc, 60, v2
	s_waitcnt lgkmcnt(0)
	v_add_f32_e32 v4, v5, v4
	v_add_lshl_u32 v5, v6, v1, 2
	ds_bpermute_b32 v5, v5, v4
	v_cndmask_b32_e64 v6, 0, 4, vcc
	v_add_lshl_u32 v6, v6, v1, 2
	v_cmp_gt_u32_e32 vcc, 56, v2
	s_waitcnt lgkmcnt(0)
	v_add_f32_e32 v4, v4, v5
	ds_bpermute_b32 v5, v6, v4
	v_cndmask_b32_e64 v6, 0, 8, vcc
	v_add_lshl_u32 v6, v6, v1, 2
	v_cmp_gt_u32_e32 vcc, 48, v2
	v_cndmask_b32_e64 v2, 0, 16, vcc
	s_waitcnt lgkmcnt(0)
	v_add_f32_e32 v4, v4, v5
	ds_bpermute_b32 v5, v6, v4
	v_add_lshl_u32 v2, v2, v1, 2
	s_waitcnt lgkmcnt(0)
	v_add_f32_e32 v4, v4, v5
	ds_bpermute_b32 v2, v2, v4
	v_mov_b32_e32 v5, 0x80
	v_lshl_or_b32 v1, v1, 2, v5
	s_waitcnt lgkmcnt(0)
	v_add_f32_e32 v2, v4, v2
	ds_bpermute_b32 v1, v1, v2
	v_and_b32_e32 v4, 63, v0
	v_cmp_eq_u32_e32 vcc, 0, v4
	s_waitcnt lgkmcnt(0)
	v_add_f32_e32 v1, v2, v1
	s_and_saveexec_b64 s[4:5], vcc
; %bb.7:
	v_lshrrev_b32_e32 v2, 4, v0
	v_add_u32_e32 v2, 0, v2
	ds_write_b32 v2, v1
; %bb.8:
	s_or_b64 exec, exec, s[4:5]
	v_cmp_eq_u32_e32 vcc, 0, v0
	s_waitcnt lgkmcnt(0)
	s_barrier
	s_and_saveexec_b64 s[4:5], vcc
	s_cbranch_execz .LBB6_10
; %bb.9:
	v_mov_b32_e32 v14, 0
	ds_read2_b32 v[4:5], v14 offset0:1 offset1:2
	ds_read2_b32 v[6:7], v14 offset0:3 offset1:4
	;; [unrolled: 1-line block ×5, first 2 shown]
	s_waitcnt lgkmcnt(4)
	v_add_f32_e32 v1, v1, v4
	v_add_f32_e32 v1, v1, v5
	s_waitcnt lgkmcnt(3)
	v_add_f32_e32 v1, v1, v6
	v_add_f32_e32 v1, v1, v7
	;; [unrolled: 3-line block ×4, first 2 shown]
	ds_read2_b32 v[1:2], v14 offset0:11 offset1:12
	ds_read2_b32 v[4:5], v14 offset0:13 offset1:14
	ds_read_b32 v7, v14 offset:60
	s_waitcnt lgkmcnt(3)
	v_add_f32_e32 v6, v6, v12
	v_add_f32_e32 v6, v6, v13
	s_waitcnt lgkmcnt(2)
	v_add_f32_e32 v1, v6, v1
	v_add_f32_e32 v1, v1, v2
	;; [unrolled: 3-line block ×3, first 2 shown]
	s_waitcnt lgkmcnt(0)
	v_add_f32_e32 v1, v1, v7
	ds_write_b32 v14, v1
.LBB6_10:
	s_or_b64 exec, exec, s[4:5]
	s_waitcnt lgkmcnt(0)
	s_barrier
	s_and_saveexec_b64 s[4:5], s[0:1]
	s_cbranch_execz .LBB6_13
; %bb.11:
	s_mul_i32 s0, s14, s9
	s_mul_hi_u32 s1, s14, s8
	s_add_i32 s0, s1, s0
	s_mul_i32 s1, s15, s8
	s_add_i32 s1, s0, s1
	s_mul_i32 s0, s14, s8
	s_lshl_b64 s[0:1], s[0:1], 2
	s_add_u32 s0, s12, s0
	s_addc_u32 s1, s13, s1
	v_mov_b32_e32 v1, 0
	s_load_dword s0, s[0:1], 0x0
	ds_read_b32 v1, v1
	s_lshl_b64 s[4:5], s[18:19], 2
	v_add3_u32 v5, v3, 0, 64
	s_waitcnt lgkmcnt(0)
	v_mul_f32_e64 v4, v1, -s0
	s_lshl_b64 s[0:1], s[10:11], 2
	s_add_u32 s0, s0, s4
	s_addc_u32 s1, s1, s5
	s_add_u32 s0, s2, s0
	s_addc_u32 s1, s3, s1
	v_mov_b32_e32 v2, s1
	v_add_co_u32_e32 v1, vcc, s0, v3
	v_addc_co_u32_e32 v2, vcc, 0, v2, vcc
	s_mov_b64 s[0:1], 0
.LBB6_12:                               ; =>This Inner Loop Header: Depth=1
	flat_load_dword v3, v[1:2]
	ds_read_b32 v6, v5
	v_add_u32_e32 v0, 0x400, v0
	v_cmp_le_i32_e32 vcc, s22, v0
	s_or_b64 s[0:1], vcc, s[0:1]
	v_add_u32_e32 v5, 0x1000, v5
	s_waitcnt vmcnt(0) lgkmcnt(0)
	v_fmac_f32_e32 v3, v4, v6
	flat_store_dword v[1:2], v3
	v_add_co_u32_e32 v1, vcc, 0x1000, v1
	v_addc_co_u32_e32 v2, vcc, 0, v2, vcc
	s_andn2_b64 exec, exec, s[0:1]
	s_cbranch_execnz .LBB6_12
.LBB6_13:
	s_endpgm
	.section	.rodata,"a",@progbits
	.p2align	6, 0x0
	.amdhsa_kernel _ZN9rocsolver6v33100L16larf_left_kernelILi1024EfiPKPfEEvT1_S5_T2_lS5_lPKT0_lS6_lS5_l
		.amdhsa_group_segment_fixed_size 0
		.amdhsa_private_segment_fixed_size 0
		.amdhsa_kernarg_size 88
		.amdhsa_user_sgpr_count 6
		.amdhsa_user_sgpr_private_segment_buffer 1
		.amdhsa_user_sgpr_dispatch_ptr 0
		.amdhsa_user_sgpr_queue_ptr 0
		.amdhsa_user_sgpr_kernarg_segment_ptr 1
		.amdhsa_user_sgpr_dispatch_id 0
		.amdhsa_user_sgpr_flat_scratch_init 0
		.amdhsa_user_sgpr_private_segment_size 0
		.amdhsa_uses_dynamic_stack 0
		.amdhsa_system_sgpr_private_segment_wavefront_offset 0
		.amdhsa_system_sgpr_workgroup_id_x 1
		.amdhsa_system_sgpr_workgroup_id_y 1
		.amdhsa_system_sgpr_workgroup_id_z 1
		.amdhsa_system_sgpr_workgroup_info 0
		.amdhsa_system_vgpr_workitem_id 0
		.amdhsa_next_free_vgpr 15
		.amdhsa_next_free_sgpr 30
		.amdhsa_reserve_vcc 1
		.amdhsa_reserve_flat_scratch 0
		.amdhsa_float_round_mode_32 0
		.amdhsa_float_round_mode_16_64 0
		.amdhsa_float_denorm_mode_32 3
		.amdhsa_float_denorm_mode_16_64 3
		.amdhsa_dx10_clamp 1
		.amdhsa_ieee_mode 1
		.amdhsa_fp16_overflow 0
		.amdhsa_exception_fp_ieee_invalid_op 0
		.amdhsa_exception_fp_denorm_src 0
		.amdhsa_exception_fp_ieee_div_zero 0
		.amdhsa_exception_fp_ieee_overflow 0
		.amdhsa_exception_fp_ieee_underflow 0
		.amdhsa_exception_fp_ieee_inexact 0
		.amdhsa_exception_int_div_zero 0
	.end_amdhsa_kernel
	.section	.text._ZN9rocsolver6v33100L16larf_left_kernelILi1024EfiPKPfEEvT1_S5_T2_lS5_lPKT0_lS6_lS5_l,"axG",@progbits,_ZN9rocsolver6v33100L16larf_left_kernelILi1024EfiPKPfEEvT1_S5_T2_lS5_lPKT0_lS6_lS5_l,comdat
.Lfunc_end6:
	.size	_ZN9rocsolver6v33100L16larf_left_kernelILi1024EfiPKPfEEvT1_S5_T2_lS5_lPKT0_lS6_lS5_l, .Lfunc_end6-_ZN9rocsolver6v33100L16larf_left_kernelILi1024EfiPKPfEEvT1_S5_T2_lS5_lPKT0_lS6_lS5_l
                                        ; -- End function
	.set _ZN9rocsolver6v33100L16larf_left_kernelILi1024EfiPKPfEEvT1_S5_T2_lS5_lPKT0_lS6_lS5_l.num_vgpr, 15
	.set _ZN9rocsolver6v33100L16larf_left_kernelILi1024EfiPKPfEEvT1_S5_T2_lS5_lPKT0_lS6_lS5_l.num_agpr, 0
	.set _ZN9rocsolver6v33100L16larf_left_kernelILi1024EfiPKPfEEvT1_S5_T2_lS5_lPKT0_lS6_lS5_l.numbered_sgpr, 30
	.set _ZN9rocsolver6v33100L16larf_left_kernelILi1024EfiPKPfEEvT1_S5_T2_lS5_lPKT0_lS6_lS5_l.num_named_barrier, 0
	.set _ZN9rocsolver6v33100L16larf_left_kernelILi1024EfiPKPfEEvT1_S5_T2_lS5_lPKT0_lS6_lS5_l.private_seg_size, 0
	.set _ZN9rocsolver6v33100L16larf_left_kernelILi1024EfiPKPfEEvT1_S5_T2_lS5_lPKT0_lS6_lS5_l.uses_vcc, 1
	.set _ZN9rocsolver6v33100L16larf_left_kernelILi1024EfiPKPfEEvT1_S5_T2_lS5_lPKT0_lS6_lS5_l.uses_flat_scratch, 0
	.set _ZN9rocsolver6v33100L16larf_left_kernelILi1024EfiPKPfEEvT1_S5_T2_lS5_lPKT0_lS6_lS5_l.has_dyn_sized_stack, 0
	.set _ZN9rocsolver6v33100L16larf_left_kernelILi1024EfiPKPfEEvT1_S5_T2_lS5_lPKT0_lS6_lS5_l.has_recursion, 0
	.set _ZN9rocsolver6v33100L16larf_left_kernelILi1024EfiPKPfEEvT1_S5_T2_lS5_lPKT0_lS6_lS5_l.has_indirect_call, 0
	.section	.AMDGPU.csdata,"",@progbits
; Kernel info:
; codeLenInByte = 1088
; TotalNumSgprs: 34
; NumVgprs: 15
; ScratchSize: 0
; MemoryBound: 0
; FloatMode: 240
; IeeeMode: 1
; LDSByteSize: 0 bytes/workgroup (compile time only)
; SGPRBlocks: 4
; VGPRBlocks: 3
; NumSGPRsForWavesPerEU: 34
; NumVGPRsForWavesPerEU: 15
; Occupancy: 10
; WaveLimiterHint : 0
; COMPUTE_PGM_RSRC2:SCRATCH_EN: 0
; COMPUTE_PGM_RSRC2:USER_SGPR: 6
; COMPUTE_PGM_RSRC2:TRAP_HANDLER: 0
; COMPUTE_PGM_RSRC2:TGID_X_EN: 1
; COMPUTE_PGM_RSRC2:TGID_Y_EN: 1
; COMPUTE_PGM_RSRC2:TGID_Z_EN: 1
; COMPUTE_PGM_RSRC2:TIDIG_COMP_CNT: 0
	.section	.text._ZN9rocsolver6v33100L17larf_right_kernelILi1024EfiPKPfEEvT1_S5_T2_lS5_lPKT0_lS6_lS5_l,"axG",@progbits,_ZN9rocsolver6v33100L17larf_right_kernelILi1024EfiPKPfEEvT1_S5_T2_lS5_lPKT0_lS6_lS5_l,comdat
	.globl	_ZN9rocsolver6v33100L17larf_right_kernelILi1024EfiPKPfEEvT1_S5_T2_lS5_lPKT0_lS6_lS5_l ; -- Begin function _ZN9rocsolver6v33100L17larf_right_kernelILi1024EfiPKPfEEvT1_S5_T2_lS5_lPKT0_lS6_lS5_l
	.p2align	8
	.type	_ZN9rocsolver6v33100L17larf_right_kernelILi1024EfiPKPfEEvT1_S5_T2_lS5_lPKT0_lS6_lS5_l,@function
_ZN9rocsolver6v33100L17larf_right_kernelILi1024EfiPKPfEEvT1_S5_T2_lS5_lPKT0_lS6_lS5_l: ; @_ZN9rocsolver6v33100L17larf_right_kernelILi1024EfiPKPfEEvT1_S5_T2_lS5_lPKT0_lS6_lS5_l
; %bb.0:
	s_load_dwordx8 s[12:19], s[4:5], 0x28
	s_load_dword s22, s[4:5], 0x4
	s_load_dword s2, s[4:5], 0x48
	s_ashr_i32 s9, s8, 31
	s_lshl_b64 s[0:1], s[8:9], 3
	s_waitcnt lgkmcnt(0)
	s_add_u32 s10, s16, s0
	s_addc_u32 s11, s17, s1
	s_load_dwordx2 s[10:11], s[10:11], 0x0
	s_mov_b32 s6, s7
	s_ashr_i32 s7, s7, 31
	v_cmp_gt_i32_e32 vcc, s22, v0
	v_mov_b32_e32 v5, 0
	v_lshlrev_b32_e32 v3, 2, v0
	s_and_saveexec_b64 s[16:17], vcc
	s_cbranch_execz .LBB7_6
; %bb.1:
	s_load_dword s20, s[4:5], 0x18
	s_load_dwordx4 s[24:27], s[4:5], 0x8
	s_sub_i32 s3, 1, s22
	v_add3_u32 v4, v3, 0, 64
	v_mov_b32_e32 v6, v4
	s_waitcnt lgkmcnt(0)
	s_ashr_i32 s21, s20, 31
	v_cmp_lt_i64_e64 s[4:5], s[20:21], 1
	s_mul_i32 s3, s20, s3
	s_and_b64 s[4:5], s[4:5], exec
	s_cselect_b32 s4, s3, 0
	s_ashr_i32 s5, s4, 31
	s_add_u32 s0, s24, s0
	s_addc_u32 s1, s25, s1
	s_load_dwordx2 s[0:1], s[0:1], 0x0
	v_mad_i64_i32 v[1:2], s[28:29], s20, v0, 0
	s_lshl_b64 s[24:25], s[26:27], 2
	s_lshl_b64 s[4:5], s[4:5], 2
	s_waitcnt lgkmcnt(0)
	s_add_u32 s0, s0, s4
	s_addc_u32 s1, s1, s5
	v_lshlrev_b64 v[1:2], 2, v[1:2]
	s_add_u32 s0, s0, s24
	s_addc_u32 s1, s1, s25
	v_mov_b32_e32 v5, s1
	v_add_co_u32_e64 v1, s[0:1], s0, v1
	s_lshl_b64 s[20:21], s[20:21], 12
	v_addc_co_u32_e64 v2, s[0:1], v5, v2, s[0:1]
	s_mov_b64 s[4:5], 0
	v_mov_b32_e32 v5, s21
	v_mov_b32_e32 v7, v0
.LBB7_2:                                ; =>This Inner Loop Header: Depth=1
	flat_load_dword v8, v[1:2]
	v_add_co_u32_e64 v1, s[0:1], s20, v1
	v_add_u32_e32 v7, 0x400, v7
	v_addc_co_u32_e64 v2, s[0:1], v2, v5, s[0:1]
	v_cmp_le_i32_e64 s[0:1], s22, v7
	s_or_b64 s[4:5], s[0:1], s[4:5]
	s_waitcnt vmcnt(0) lgkmcnt(0)
	ds_write_b32 v6, v8
	v_add_u32_e32 v6, 0x1000, v6
	s_andn2_b64 exec, exec, s[4:5]
	s_cbranch_execnz .LBB7_2
; %bb.3:
	s_or_b64 exec, exec, s[4:5]
	v_mad_i64_i32 v[1:2], s[0:1], s2, v0, 0
	s_ashr_i32 s3, s2, 31
	s_lshl_b64 s[0:1], s[18:19], 2
	s_lshl_b64 s[4:5], s[6:7], 2
	s_add_u32 s4, s10, s4
	s_addc_u32 s5, s11, s5
	v_lshlrev_b64 v[1:2], 2, v[1:2]
	s_add_u32 s0, s4, s0
	s_addc_u32 s1, s5, s1
	v_mov_b32_e32 v5, s1
	v_add_co_u32_e64 v1, s[0:1], s0, v1
	s_lshl_b64 s[4:5], s[2:3], 12
	v_addc_co_u32_e64 v2, s[0:1], v5, v2, s[0:1]
	v_mov_b32_e32 v5, 0
	s_mov_b64 s[20:21], 0
	v_mov_b32_e32 v6, s5
	v_mov_b32_e32 v7, v0
.LBB7_4:                                ; =>This Inner Loop Header: Depth=1
	flat_load_dword v8, v[1:2]
	ds_read_b32 v9, v4
	v_add_co_u32_e64 v1, s[0:1], s4, v1
	v_add_u32_e32 v7, 0x400, v7
	v_addc_co_u32_e64 v2, s[0:1], v2, v6, s[0:1]
	v_cmp_le_i32_e64 s[0:1], s22, v7
	v_add_u32_e32 v4, 0x1000, v4
	s_or_b64 s[20:21], s[0:1], s[20:21]
	s_waitcnt vmcnt(0) lgkmcnt(0)
	v_fmac_f32_e32 v5, v8, v9
	s_andn2_b64 exec, exec, s[20:21]
	s_cbranch_execnz .LBB7_4
; %bb.5:
	s_or_b64 exec, exec, s[20:21]
.LBB7_6:
	s_or_b64 exec, exec, s[16:17]
	v_mbcnt_lo_u32_b32 v1, -1, 0
	v_mbcnt_hi_u32_b32 v1, -1, v1
	v_and_b32_e32 v2, 63, v1
	v_cmp_ne_u32_e64 s[0:1], 63, v2
	v_addc_co_u32_e64 v4, s[0:1], 0, v1, s[0:1]
	v_lshlrev_b32_e32 v4, 2, v4
	ds_bpermute_b32 v4, v4, v5
	v_cmp_gt_u32_e64 s[0:1], 62, v2
	v_cndmask_b32_e64 v6, 0, 2, s[0:1]
	v_cmp_gt_u32_e64 s[0:1], 60, v2
	s_waitcnt lgkmcnt(0)
	v_add_f32_e32 v4, v5, v4
	v_add_lshl_u32 v5, v6, v1, 2
	ds_bpermute_b32 v5, v5, v4
	v_cndmask_b32_e64 v6, 0, 4, s[0:1]
	v_add_lshl_u32 v6, v6, v1, 2
	v_cmp_gt_u32_e64 s[0:1], 56, v2
	s_waitcnt lgkmcnt(0)
	v_add_f32_e32 v4, v4, v5
	ds_bpermute_b32 v5, v6, v4
	v_cndmask_b32_e64 v6, 0, 8, s[0:1]
	v_add_lshl_u32 v6, v6, v1, 2
	v_cmp_gt_u32_e64 s[0:1], 48, v2
	v_cndmask_b32_e64 v2, 0, 16, s[0:1]
	s_waitcnt lgkmcnt(0)
	v_add_f32_e32 v4, v4, v5
	ds_bpermute_b32 v5, v6, v4
	v_add_lshl_u32 v2, v2, v1, 2
	s_waitcnt lgkmcnt(0)
	v_add_f32_e32 v4, v4, v5
	ds_bpermute_b32 v2, v2, v4
	v_mov_b32_e32 v5, 0x80
	v_lshl_or_b32 v1, v1, 2, v5
	s_waitcnt lgkmcnt(0)
	v_add_f32_e32 v2, v4, v2
	ds_bpermute_b32 v1, v1, v2
	v_and_b32_e32 v4, 63, v0
	v_cmp_eq_u32_e64 s[0:1], 0, v4
	s_waitcnt lgkmcnt(0)
	v_add_f32_e32 v1, v2, v1
	s_and_saveexec_b64 s[4:5], s[0:1]
; %bb.7:
	v_lshrrev_b32_e32 v2, 4, v0
	v_add_u32_e32 v2, 0, v2
	ds_write_b32 v2, v1
; %bb.8:
	s_or_b64 exec, exec, s[4:5]
	v_cmp_eq_u32_e64 s[0:1], 0, v0
	s_waitcnt lgkmcnt(0)
	s_barrier
	s_and_saveexec_b64 s[4:5], s[0:1]
	s_cbranch_execz .LBB7_10
; %bb.9:
	v_mov_b32_e32 v14, 0
	ds_read2_b32 v[4:5], v14 offset0:1 offset1:2
	ds_read2_b32 v[6:7], v14 offset0:3 offset1:4
	;; [unrolled: 1-line block ×5, first 2 shown]
	s_waitcnt lgkmcnt(4)
	v_add_f32_e32 v1, v1, v4
	v_add_f32_e32 v1, v1, v5
	s_waitcnt lgkmcnt(3)
	v_add_f32_e32 v1, v1, v6
	v_add_f32_e32 v1, v1, v7
	;; [unrolled: 3-line block ×4, first 2 shown]
	ds_read2_b32 v[1:2], v14 offset0:11 offset1:12
	ds_read2_b32 v[4:5], v14 offset0:13 offset1:14
	ds_read_b32 v7, v14 offset:60
	s_waitcnt lgkmcnt(3)
	v_add_f32_e32 v6, v6, v12
	v_add_f32_e32 v6, v6, v13
	s_waitcnt lgkmcnt(2)
	v_add_f32_e32 v1, v6, v1
	v_add_f32_e32 v1, v1, v2
	;; [unrolled: 3-line block ×3, first 2 shown]
	s_waitcnt lgkmcnt(0)
	v_add_f32_e32 v1, v1, v7
	ds_write_b32 v14, v1
.LBB7_10:
	s_or_b64 exec, exec, s[4:5]
	s_waitcnt lgkmcnt(0)
	s_barrier
	s_and_saveexec_b64 s[0:1], vcc
	s_cbranch_execz .LBB7_13
; %bb.11:
	s_mul_i32 s0, s14, s9
	s_mul_hi_u32 s1, s14, s8
	s_add_i32 s0, s1, s0
	s_mul_i32 s1, s15, s8
	s_add_i32 s1, s0, s1
	s_mul_i32 s0, s14, s8
	s_lshl_b64 s[0:1], s[0:1], 2
	s_add_u32 s0, s12, s0
	s_addc_u32 s1, s13, s1
	v_mov_b32_e32 v1, 0
	s_load_dword s3, s[0:1], 0x0
	ds_read_b32 v4, v1
	v_mad_i64_i32 v[1:2], s[0:1], s2, v0, 0
	s_lshl_b64 s[0:1], s[18:19], 2
	s_lshl_b64 s[4:5], s[6:7], 2
	s_waitcnt lgkmcnt(0)
	v_mul_f32_e64 v4, v4, -s3
	s_ashr_i32 s3, s2, 31
	s_add_u32 s4, s10, s4
	s_addc_u32 s5, s11, s5
	v_lshlrev_b64 v[1:2], 2, v[1:2]
	s_add_u32 s0, s4, s0
	s_addc_u32 s1, s5, s1
	v_mov_b32_e32 v5, s1
	v_add_co_u32_e32 v1, vcc, s0, v1
	s_lshl_b64 s[0:1], s[2:3], 12
	v_add3_u32 v3, v3, 0, 64
	v_addc_co_u32_e32 v2, vcc, v5, v2, vcc
	s_mov_b64 s[2:3], 0
	v_mov_b32_e32 v5, s1
.LBB7_12:                               ; =>This Inner Loop Header: Depth=1
	flat_load_dword v6, v[1:2]
	ds_read_b32 v7, v3
	v_add_u32_e32 v0, 0x400, v0
	v_cmp_le_i32_e32 vcc, s22, v0
	s_or_b64 s[2:3], vcc, s[2:3]
	v_add_u32_e32 v3, 0x1000, v3
	s_waitcnt vmcnt(0) lgkmcnt(0)
	v_fmac_f32_e32 v6, v4, v7
	flat_store_dword v[1:2], v6
	v_add_co_u32_e32 v1, vcc, s0, v1
	v_addc_co_u32_e32 v2, vcc, v2, v5, vcc
	s_andn2_b64 exec, exec, s[2:3]
	s_cbranch_execnz .LBB7_12
.LBB7_13:
	s_endpgm
	.section	.rodata,"a",@progbits
	.p2align	6, 0x0
	.amdhsa_kernel _ZN9rocsolver6v33100L17larf_right_kernelILi1024EfiPKPfEEvT1_S5_T2_lS5_lPKT0_lS6_lS5_l
		.amdhsa_group_segment_fixed_size 0
		.amdhsa_private_segment_fixed_size 0
		.amdhsa_kernarg_size 88
		.amdhsa_user_sgpr_count 6
		.amdhsa_user_sgpr_private_segment_buffer 1
		.amdhsa_user_sgpr_dispatch_ptr 0
		.amdhsa_user_sgpr_queue_ptr 0
		.amdhsa_user_sgpr_kernarg_segment_ptr 1
		.amdhsa_user_sgpr_dispatch_id 0
		.amdhsa_user_sgpr_flat_scratch_init 0
		.amdhsa_user_sgpr_private_segment_size 0
		.amdhsa_uses_dynamic_stack 0
		.amdhsa_system_sgpr_private_segment_wavefront_offset 0
		.amdhsa_system_sgpr_workgroup_id_x 1
		.amdhsa_system_sgpr_workgroup_id_y 1
		.amdhsa_system_sgpr_workgroup_id_z 1
		.amdhsa_system_sgpr_workgroup_info 0
		.amdhsa_system_vgpr_workitem_id 0
		.amdhsa_next_free_vgpr 15
		.amdhsa_next_free_sgpr 30
		.amdhsa_reserve_vcc 1
		.amdhsa_reserve_flat_scratch 0
		.amdhsa_float_round_mode_32 0
		.amdhsa_float_round_mode_16_64 0
		.amdhsa_float_denorm_mode_32 3
		.amdhsa_float_denorm_mode_16_64 3
		.amdhsa_dx10_clamp 1
		.amdhsa_ieee_mode 1
		.amdhsa_fp16_overflow 0
		.amdhsa_exception_fp_ieee_invalid_op 0
		.amdhsa_exception_fp_denorm_src 0
		.amdhsa_exception_fp_ieee_div_zero 0
		.amdhsa_exception_fp_ieee_overflow 0
		.amdhsa_exception_fp_ieee_underflow 0
		.amdhsa_exception_fp_ieee_inexact 0
		.amdhsa_exception_int_div_zero 0
	.end_amdhsa_kernel
	.section	.text._ZN9rocsolver6v33100L17larf_right_kernelILi1024EfiPKPfEEvT1_S5_T2_lS5_lPKT0_lS6_lS5_l,"axG",@progbits,_ZN9rocsolver6v33100L17larf_right_kernelILi1024EfiPKPfEEvT1_S5_T2_lS5_lPKT0_lS6_lS5_l,comdat
.Lfunc_end7:
	.size	_ZN9rocsolver6v33100L17larf_right_kernelILi1024EfiPKPfEEvT1_S5_T2_lS5_lPKT0_lS6_lS5_l, .Lfunc_end7-_ZN9rocsolver6v33100L17larf_right_kernelILi1024EfiPKPfEEvT1_S5_T2_lS5_lPKT0_lS6_lS5_l
                                        ; -- End function
	.set _ZN9rocsolver6v33100L17larf_right_kernelILi1024EfiPKPfEEvT1_S5_T2_lS5_lPKT0_lS6_lS5_l.num_vgpr, 15
	.set _ZN9rocsolver6v33100L17larf_right_kernelILi1024EfiPKPfEEvT1_S5_T2_lS5_lPKT0_lS6_lS5_l.num_agpr, 0
	.set _ZN9rocsolver6v33100L17larf_right_kernelILi1024EfiPKPfEEvT1_S5_T2_lS5_lPKT0_lS6_lS5_l.numbered_sgpr, 30
	.set _ZN9rocsolver6v33100L17larf_right_kernelILi1024EfiPKPfEEvT1_S5_T2_lS5_lPKT0_lS6_lS5_l.num_named_barrier, 0
	.set _ZN9rocsolver6v33100L17larf_right_kernelILi1024EfiPKPfEEvT1_S5_T2_lS5_lPKT0_lS6_lS5_l.private_seg_size, 0
	.set _ZN9rocsolver6v33100L17larf_right_kernelILi1024EfiPKPfEEvT1_S5_T2_lS5_lPKT0_lS6_lS5_l.uses_vcc, 1
	.set _ZN9rocsolver6v33100L17larf_right_kernelILi1024EfiPKPfEEvT1_S5_T2_lS5_lPKT0_lS6_lS5_l.uses_flat_scratch, 0
	.set _ZN9rocsolver6v33100L17larf_right_kernelILi1024EfiPKPfEEvT1_S5_T2_lS5_lPKT0_lS6_lS5_l.has_dyn_sized_stack, 0
	.set _ZN9rocsolver6v33100L17larf_right_kernelILi1024EfiPKPfEEvT1_S5_T2_lS5_lPKT0_lS6_lS5_l.has_recursion, 0
	.set _ZN9rocsolver6v33100L17larf_right_kernelILi1024EfiPKPfEEvT1_S5_T2_lS5_lPKT0_lS6_lS5_l.has_indirect_call, 0
	.section	.AMDGPU.csdata,"",@progbits
; Kernel info:
; codeLenInByte = 1200
; TotalNumSgprs: 34
; NumVgprs: 15
; ScratchSize: 0
; MemoryBound: 0
; FloatMode: 240
; IeeeMode: 1
; LDSByteSize: 0 bytes/workgroup (compile time only)
; SGPRBlocks: 4
; VGPRBlocks: 3
; NumSGPRsForWavesPerEU: 34
; NumVGPRsForWavesPerEU: 15
; Occupancy: 10
; WaveLimiterHint : 0
; COMPUTE_PGM_RSRC2:SCRATCH_EN: 0
; COMPUTE_PGM_RSRC2:USER_SGPR: 6
; COMPUTE_PGM_RSRC2:TRAP_HANDLER: 0
; COMPUTE_PGM_RSRC2:TGID_X_EN: 1
; COMPUTE_PGM_RSRC2:TGID_Y_EN: 1
; COMPUTE_PGM_RSRC2:TGID_Z_EN: 1
; COMPUTE_PGM_RSRC2:TIDIG_COMP_CNT: 0
	.section	.text._ZN9rocsolver6v33100L9get_arrayIfiEEvPPT_S3_lT0_,"axG",@progbits,_ZN9rocsolver6v33100L9get_arrayIfiEEvPPT_S3_lT0_,comdat
	.globl	_ZN9rocsolver6v33100L9get_arrayIfiEEvPPT_S3_lT0_ ; -- Begin function _ZN9rocsolver6v33100L9get_arrayIfiEEvPPT_S3_lT0_
	.p2align	8
	.type	_ZN9rocsolver6v33100L9get_arrayIfiEEvPPT_S3_lT0_,@function
_ZN9rocsolver6v33100L9get_arrayIfiEEvPPT_S3_lT0_: ; @_ZN9rocsolver6v33100L9get_arrayIfiEEvPPT_S3_lT0_
; %bb.0:
	s_load_dword s0, s[4:5], 0x2c
	s_load_dword s1, s[4:5], 0x18
	s_waitcnt lgkmcnt(0)
	s_and_b32 s0, s0, 0xffff
	s_mul_i32 s6, s6, s0
	v_add_u32_e32 v0, s6, v0
	v_cmp_gt_i32_e32 vcc, s1, v0
	s_and_saveexec_b64 s[0:1], vcc
	s_cbranch_execz .LBB8_2
; %bb.1:
	s_load_dwordx2 s[6:7], s[4:5], 0x10
	s_load_dwordx4 s[0:3], s[4:5], 0x0
	v_ashrrev_i32_e32 v1, 31, v0
	s_waitcnt lgkmcnt(0)
	v_mul_lo_u32 v4, s7, v0
	v_mul_lo_u32 v5, s6, v1
	v_mad_u64_u32 v[2:3], s[4:5], s6, v0, 0
	v_mov_b32_e32 v6, s3
	v_lshlrev_b64 v[0:1], 3, v[0:1]
	v_add3_u32 v3, v3, v5, v4
	v_lshlrev_b64 v[2:3], 2, v[2:3]
	v_mov_b32_e32 v4, s1
	v_add_co_u32_e32 v2, vcc, s2, v2
	v_addc_co_u32_e32 v3, vcc, v6, v3, vcc
	v_add_co_u32_e32 v0, vcc, s0, v0
	v_addc_co_u32_e32 v1, vcc, v4, v1, vcc
	global_store_dwordx2 v[0:1], v[2:3], off
.LBB8_2:
	s_endpgm
	.section	.rodata,"a",@progbits
	.p2align	6, 0x0
	.amdhsa_kernel _ZN9rocsolver6v33100L9get_arrayIfiEEvPPT_S3_lT0_
		.amdhsa_group_segment_fixed_size 0
		.amdhsa_private_segment_fixed_size 0
		.amdhsa_kernarg_size 288
		.amdhsa_user_sgpr_count 6
		.amdhsa_user_sgpr_private_segment_buffer 1
		.amdhsa_user_sgpr_dispatch_ptr 0
		.amdhsa_user_sgpr_queue_ptr 0
		.amdhsa_user_sgpr_kernarg_segment_ptr 1
		.amdhsa_user_sgpr_dispatch_id 0
		.amdhsa_user_sgpr_flat_scratch_init 0
		.amdhsa_user_sgpr_private_segment_size 0
		.amdhsa_uses_dynamic_stack 0
		.amdhsa_system_sgpr_private_segment_wavefront_offset 0
		.amdhsa_system_sgpr_workgroup_id_x 1
		.amdhsa_system_sgpr_workgroup_id_y 0
		.amdhsa_system_sgpr_workgroup_id_z 0
		.amdhsa_system_sgpr_workgroup_info 0
		.amdhsa_system_vgpr_workitem_id 0
		.amdhsa_next_free_vgpr 7
		.amdhsa_next_free_sgpr 8
		.amdhsa_reserve_vcc 1
		.amdhsa_reserve_flat_scratch 0
		.amdhsa_float_round_mode_32 0
		.amdhsa_float_round_mode_16_64 0
		.amdhsa_float_denorm_mode_32 3
		.amdhsa_float_denorm_mode_16_64 3
		.amdhsa_dx10_clamp 1
		.amdhsa_ieee_mode 1
		.amdhsa_fp16_overflow 0
		.amdhsa_exception_fp_ieee_invalid_op 0
		.amdhsa_exception_fp_denorm_src 0
		.amdhsa_exception_fp_ieee_div_zero 0
		.amdhsa_exception_fp_ieee_overflow 0
		.amdhsa_exception_fp_ieee_underflow 0
		.amdhsa_exception_fp_ieee_inexact 0
		.amdhsa_exception_int_div_zero 0
	.end_amdhsa_kernel
	.section	.text._ZN9rocsolver6v33100L9get_arrayIfiEEvPPT_S3_lT0_,"axG",@progbits,_ZN9rocsolver6v33100L9get_arrayIfiEEvPPT_S3_lT0_,comdat
.Lfunc_end8:
	.size	_ZN9rocsolver6v33100L9get_arrayIfiEEvPPT_S3_lT0_, .Lfunc_end8-_ZN9rocsolver6v33100L9get_arrayIfiEEvPPT_S3_lT0_
                                        ; -- End function
	.set _ZN9rocsolver6v33100L9get_arrayIfiEEvPPT_S3_lT0_.num_vgpr, 7
	.set _ZN9rocsolver6v33100L9get_arrayIfiEEvPPT_S3_lT0_.num_agpr, 0
	.set _ZN9rocsolver6v33100L9get_arrayIfiEEvPPT_S3_lT0_.numbered_sgpr, 8
	.set _ZN9rocsolver6v33100L9get_arrayIfiEEvPPT_S3_lT0_.num_named_barrier, 0
	.set _ZN9rocsolver6v33100L9get_arrayIfiEEvPPT_S3_lT0_.private_seg_size, 0
	.set _ZN9rocsolver6v33100L9get_arrayIfiEEvPPT_S3_lT0_.uses_vcc, 1
	.set _ZN9rocsolver6v33100L9get_arrayIfiEEvPPT_S3_lT0_.uses_flat_scratch, 0
	.set _ZN9rocsolver6v33100L9get_arrayIfiEEvPPT_S3_lT0_.has_dyn_sized_stack, 0
	.set _ZN9rocsolver6v33100L9get_arrayIfiEEvPPT_S3_lT0_.has_recursion, 0
	.set _ZN9rocsolver6v33100L9get_arrayIfiEEvPPT_S3_lT0_.has_indirect_call, 0
	.section	.AMDGPU.csdata,"",@progbits
; Kernel info:
; codeLenInByte = 156
; TotalNumSgprs: 12
; NumVgprs: 7
; ScratchSize: 0
; MemoryBound: 0
; FloatMode: 240
; IeeeMode: 1
; LDSByteSize: 0 bytes/workgroup (compile time only)
; SGPRBlocks: 1
; VGPRBlocks: 1
; NumSGPRsForWavesPerEU: 12
; NumVGPRsForWavesPerEU: 7
; Occupancy: 10
; WaveLimiterHint : 0
; COMPUTE_PGM_RSRC2:SCRATCH_EN: 0
; COMPUTE_PGM_RSRC2:USER_SGPR: 6
; COMPUTE_PGM_RSRC2:TRAP_HANDLER: 0
; COMPUTE_PGM_RSRC2:TGID_X_EN: 1
; COMPUTE_PGM_RSRC2:TGID_Y_EN: 0
; COMPUTE_PGM_RSRC2:TGID_Z_EN: 0
; COMPUTE_PGM_RSRC2:TIDIG_COMP_CNT: 0
	.section	.text._ZN9rocsolver6v33100L12restore_diagIfifPKPfEEvPT1_llT2_lT0_lS8_,"axG",@progbits,_ZN9rocsolver6v33100L12restore_diagIfifPKPfEEvPT1_llT2_lT0_lS8_,comdat
	.globl	_ZN9rocsolver6v33100L12restore_diagIfifPKPfEEvPT1_llT2_lT0_lS8_ ; -- Begin function _ZN9rocsolver6v33100L12restore_diagIfifPKPfEEvPT1_llT2_lT0_lS8_
	.p2align	8
	.type	_ZN9rocsolver6v33100L12restore_diagIfifPKPfEEvPT1_llT2_lT0_lS8_,@function
_ZN9rocsolver6v33100L12restore_diagIfifPKPfEEvPT1_llT2_lT0_lS8_: ; @_ZN9rocsolver6v33100L12restore_diagIfifPKPfEEvPT1_llT2_lT0_lS8_
; %bb.0:
	s_load_dword s0, s[4:5], 0x4c
	s_load_dword s1, s[4:5], 0x38
	s_waitcnt lgkmcnt(0)
	s_lshr_b32 s0, s0, 16
	s_mul_i32 s7, s7, s0
	v_add_u32_e32 v0, s7, v1
	v_cmp_gt_i32_e32 vcc, s1, v0
	s_and_saveexec_b64 s[0:1], vcc
	s_cbranch_execz .LBB9_2
; %bb.1:
	s_load_dwordx8 s[8:15], s[4:5], 0x0
	s_load_dwordx2 s[0:1], s[4:5], 0x20
	s_ashr_i32 s7, s6, 31
	s_lshl_b64 s[2:3], s[6:7], 3
	s_waitcnt lgkmcnt(0)
	s_add_u32 s2, s14, s2
	s_addc_u32 s3, s15, s3
	s_load_dwordx2 s[14:15], s[2:3], 0x0
	s_load_dword s16, s[4:5], 0x28
	s_lshl_b64 s[0:1], s[0:1], 2
	s_mul_hi_u32 s2, s12, s6
	s_mul_i32 s3, s12, s7
	s_waitcnt lgkmcnt(0)
	s_add_u32 s4, s14, s0
	s_addc_u32 s5, s15, s1
	s_add_i32 s0, s2, s3
	s_mul_i32 s1, s13, s6
	s_add_i32 s1, s0, s1
	s_mul_i32 s0, s12, s6
	s_lshl_b64 s[0:1], s[0:1], 2
	s_add_u32 s2, s8, s0
	s_addc_u32 s3, s9, s1
	s_lshl_b64 s[0:1], s[10:11], 2
	s_add_u32 s2, s2, s0
	s_addc_u32 s3, s3, s1
	v_mad_u64_u32 v[2:3], s[0:1], v0, s16, v[0:1]
	v_ashrrev_i32_e32 v1, 31, v0
	v_lshlrev_b64 v[0:1], 2, v[0:1]
	v_mov_b32_e32 v3, s3
	v_add_co_u32_e32 v0, vcc, s2, v0
	v_addc_co_u32_e32 v1, vcc, v3, v1, vcc
	global_load_dword v4, v[0:1], off
	v_ashrrev_i32_e32 v3, 31, v2
	v_lshlrev_b64 v[0:1], 2, v[2:3]
	v_mov_b32_e32 v2, s5
	v_add_co_u32_e32 v0, vcc, s4, v0
	v_addc_co_u32_e32 v1, vcc, v2, v1, vcc
	s_waitcnt vmcnt(0)
	flat_store_dword v[0:1], v4
.LBB9_2:
	s_endpgm
	.section	.rodata,"a",@progbits
	.p2align	6, 0x0
	.amdhsa_kernel _ZN9rocsolver6v33100L12restore_diagIfifPKPfEEvPT1_llT2_lT0_lS8_
		.amdhsa_group_segment_fixed_size 0
		.amdhsa_private_segment_fixed_size 0
		.amdhsa_kernarg_size 320
		.amdhsa_user_sgpr_count 6
		.amdhsa_user_sgpr_private_segment_buffer 1
		.amdhsa_user_sgpr_dispatch_ptr 0
		.amdhsa_user_sgpr_queue_ptr 0
		.amdhsa_user_sgpr_kernarg_segment_ptr 1
		.amdhsa_user_sgpr_dispatch_id 0
		.amdhsa_user_sgpr_flat_scratch_init 0
		.amdhsa_user_sgpr_private_segment_size 0
		.amdhsa_uses_dynamic_stack 0
		.amdhsa_system_sgpr_private_segment_wavefront_offset 0
		.amdhsa_system_sgpr_workgroup_id_x 1
		.amdhsa_system_sgpr_workgroup_id_y 1
		.amdhsa_system_sgpr_workgroup_id_z 0
		.amdhsa_system_sgpr_workgroup_info 0
		.amdhsa_system_vgpr_workitem_id 1
		.amdhsa_next_free_vgpr 5
		.amdhsa_next_free_sgpr 17
		.amdhsa_reserve_vcc 1
		.amdhsa_reserve_flat_scratch 0
		.amdhsa_float_round_mode_32 0
		.amdhsa_float_round_mode_16_64 0
		.amdhsa_float_denorm_mode_32 3
		.amdhsa_float_denorm_mode_16_64 3
		.amdhsa_dx10_clamp 1
		.amdhsa_ieee_mode 1
		.amdhsa_fp16_overflow 0
		.amdhsa_exception_fp_ieee_invalid_op 0
		.amdhsa_exception_fp_denorm_src 0
		.amdhsa_exception_fp_ieee_div_zero 0
		.amdhsa_exception_fp_ieee_overflow 0
		.amdhsa_exception_fp_ieee_underflow 0
		.amdhsa_exception_fp_ieee_inexact 0
		.amdhsa_exception_int_div_zero 0
	.end_amdhsa_kernel
	.section	.text._ZN9rocsolver6v33100L12restore_diagIfifPKPfEEvPT1_llT2_lT0_lS8_,"axG",@progbits,_ZN9rocsolver6v33100L12restore_diagIfifPKPfEEvPT1_llT2_lT0_lS8_,comdat
.Lfunc_end9:
	.size	_ZN9rocsolver6v33100L12restore_diagIfifPKPfEEvPT1_llT2_lT0_lS8_, .Lfunc_end9-_ZN9rocsolver6v33100L12restore_diagIfifPKPfEEvPT1_llT2_lT0_lS8_
                                        ; -- End function
	.set _ZN9rocsolver6v33100L12restore_diagIfifPKPfEEvPT1_llT2_lT0_lS8_.num_vgpr, 5
	.set _ZN9rocsolver6v33100L12restore_diagIfifPKPfEEvPT1_llT2_lT0_lS8_.num_agpr, 0
	.set _ZN9rocsolver6v33100L12restore_diagIfifPKPfEEvPT1_llT2_lT0_lS8_.numbered_sgpr, 17
	.set _ZN9rocsolver6v33100L12restore_diagIfifPKPfEEvPT1_llT2_lT0_lS8_.num_named_barrier, 0
	.set _ZN9rocsolver6v33100L12restore_diagIfifPKPfEEvPT1_llT2_lT0_lS8_.private_seg_size, 0
	.set _ZN9rocsolver6v33100L12restore_diagIfifPKPfEEvPT1_llT2_lT0_lS8_.uses_vcc, 1
	.set _ZN9rocsolver6v33100L12restore_diagIfifPKPfEEvPT1_llT2_lT0_lS8_.uses_flat_scratch, 0
	.set _ZN9rocsolver6v33100L12restore_diagIfifPKPfEEvPT1_llT2_lT0_lS8_.has_dyn_sized_stack, 0
	.set _ZN9rocsolver6v33100L12restore_diagIfifPKPfEEvPT1_llT2_lT0_lS8_.has_recursion, 0
	.set _ZN9rocsolver6v33100L12restore_diagIfifPKPfEEvPT1_llT2_lT0_lS8_.has_indirect_call, 0
	.section	.AMDGPU.csdata,"",@progbits
; Kernel info:
; codeLenInByte = 240
; TotalNumSgprs: 21
; NumVgprs: 5
; ScratchSize: 0
; MemoryBound: 0
; FloatMode: 240
; IeeeMode: 1
; LDSByteSize: 0 bytes/workgroup (compile time only)
; SGPRBlocks: 2
; VGPRBlocks: 1
; NumSGPRsForWavesPerEU: 21
; NumVGPRsForWavesPerEU: 5
; Occupancy: 10
; WaveLimiterHint : 1
; COMPUTE_PGM_RSRC2:SCRATCH_EN: 0
; COMPUTE_PGM_RSRC2:USER_SGPR: 6
; COMPUTE_PGM_RSRC2:TRAP_HANDLER: 0
; COMPUTE_PGM_RSRC2:TGID_X_EN: 1
; COMPUTE_PGM_RSRC2:TGID_Y_EN: 1
; COMPUTE_PGM_RSRC2:TGID_Z_EN: 0
; COMPUTE_PGM_RSRC2:TIDIG_COMP_CNT: 1
	.section	.text._ZN9rocsolver6v33100L13larft_set_triIfPKPfEEv13rocblas_fill_iT0_iilPT_,"axG",@progbits,_ZN9rocsolver6v33100L13larft_set_triIfPKPfEEv13rocblas_fill_iT0_iilPT_,comdat
	.globl	_ZN9rocsolver6v33100L13larft_set_triIfPKPfEEv13rocblas_fill_iT0_iilPT_ ; -- Begin function _ZN9rocsolver6v33100L13larft_set_triIfPKPfEEv13rocblas_fill_iT0_iilPT_
	.p2align	8
	.type	_ZN9rocsolver6v33100L13larft_set_triIfPKPfEEv13rocblas_fill_iT0_iilPT_,@function
_ZN9rocsolver6v33100L13larft_set_triIfPKPfEEv13rocblas_fill_iT0_iilPT_: ; @_ZN9rocsolver6v33100L13larft_set_triIfPKPfEEv13rocblas_fill_iT0_iilPT_
; %bb.0:
	s_load_dword s2, s[4:5], 0x34
	s_load_dwordx2 s[0:1], s[4:5], 0x0
	s_waitcnt lgkmcnt(0)
	s_lshr_b32 s3, s2, 16
	s_and_b32 s2, s2, 0xffff
	s_mul_i32 s7, s7, s3
	s_mul_i32 s6, s6, s2
	v_add_u32_e32 v1, s7, v1
	v_add_u32_e32 v0, s6, v0
	v_max_u32_e32 v2, v1, v0
	v_cmp_gt_u32_e32 vcc, s1, v2
	s_and_saveexec_b64 s[2:3], vcc
	s_cbranch_execz .LBB10_3
; %bb.1:
	s_cmpk_lg_i32 s0, 0x7a
	s_cselect_b64 s[2:3], -1, 0
	s_cmpk_lg_i32 s0, 0x79
	s_cselect_b64 s[6:7], -1, 0
	v_cmp_lt_u32_e32 vcc, v1, v0
	s_or_b64 s[6:7], s[6:7], vcc
	v_cmp_lt_u32_e32 vcc, v0, v1
	s_or_b64 s[2:3], s[2:3], vcc
	s_and_b64 s[2:3], s[6:7], s[2:3]
	s_xor_b64 s[2:3], s[2:3], -1
	s_and_b64 exec, exec, s[2:3]
	s_cbranch_execz .LBB10_3
; %bb.2:
	s_load_dwordx4 s[12:15], s[4:5], 0x8
	s_load_dwordx2 s[2:3], s[4:5], 0x20
	s_mov_b32 s9, 0
	s_ashr_i32 s0, s1, 31
	s_lshl_b64 s[4:5], s[8:9], 3
	s_waitcnt lgkmcnt(0)
	s_ashr_i32 s7, s14, 31
	s_add_u32 s4, s12, s4
	s_addc_u32 s5, s13, s5
	s_load_dwordx2 s[4:5], s[4:5], 0x0
	v_mad_u64_u32 v[2:3], s[10:11], v1, s15, v[0:1]
	s_mov_b32 s6, s14
	s_lshl_b64 s[6:7], s[6:7], 2
	v_mov_b32_e32 v3, 0
	s_waitcnt lgkmcnt(0)
	s_add_u32 s4, s4, s6
	v_lshlrev_b64 v[4:5], 2, v[2:3]
	s_addc_u32 s5, s5, s7
	v_mov_b32_e32 v2, s5
	v_add_co_u32_e32 v4, vcc, s4, v4
	v_addc_co_u32_e32 v5, vcc, v2, v5, vcc
	flat_load_dword v2, v[4:5]
	v_mad_u64_u32 v[6:7], s[4:5], v1, s1, v[0:1]
	s_mul_hi_u32 s6, s1, s8
	s_mul_i32 s7, s1, s8
	s_mul_i32 s4, s0, s8
	;; [unrolled: 1-line block ×3, first 2 shown]
	s_mul_hi_u32 s8, s7, s1
	s_add_i32 s4, s6, s4
	s_add_i32 s5, s8, s5
	s_mul_i32 s4, s4, s1
	s_mul_i32 s0, s7, s1
	s_add_i32 s1, s5, s4
	v_mov_b32_e32 v7, v3
	s_lshl_b64 s[0:1], s[0:1], 2
	v_cmp_eq_u32_e32 vcc, v0, v1
	v_lshlrev_b64 v[0:1], 2, v[6:7]
	s_add_u32 s0, s2, s0
	s_addc_u32 s1, s3, s1
	v_cndmask_b32_e64 v8, 0, 1.0, vcc
	v_mov_b32_e32 v3, s1
	v_add_co_u32_e32 v0, vcc, s0, v0
	v_addc_co_u32_e32 v1, vcc, v3, v1, vcc
	s_waitcnt vmcnt(0) lgkmcnt(0)
	global_store_dword v[0:1], v2, off
	flat_store_dword v[4:5], v8
.LBB10_3:
	s_endpgm
	.section	.rodata,"a",@progbits
	.p2align	6, 0x0
	.amdhsa_kernel _ZN9rocsolver6v33100L13larft_set_triIfPKPfEEv13rocblas_fill_iT0_iilPT_
		.amdhsa_group_segment_fixed_size 0
		.amdhsa_private_segment_fixed_size 0
		.amdhsa_kernarg_size 296
		.amdhsa_user_sgpr_count 6
		.amdhsa_user_sgpr_private_segment_buffer 1
		.amdhsa_user_sgpr_dispatch_ptr 0
		.amdhsa_user_sgpr_queue_ptr 0
		.amdhsa_user_sgpr_kernarg_segment_ptr 1
		.amdhsa_user_sgpr_dispatch_id 0
		.amdhsa_user_sgpr_flat_scratch_init 0
		.amdhsa_user_sgpr_private_segment_size 0
		.amdhsa_uses_dynamic_stack 0
		.amdhsa_system_sgpr_private_segment_wavefront_offset 0
		.amdhsa_system_sgpr_workgroup_id_x 1
		.amdhsa_system_sgpr_workgroup_id_y 1
		.amdhsa_system_sgpr_workgroup_id_z 1
		.amdhsa_system_sgpr_workgroup_info 0
		.amdhsa_system_vgpr_workitem_id 1
		.amdhsa_next_free_vgpr 9
		.amdhsa_next_free_sgpr 16
		.amdhsa_reserve_vcc 1
		.amdhsa_reserve_flat_scratch 0
		.amdhsa_float_round_mode_32 0
		.amdhsa_float_round_mode_16_64 0
		.amdhsa_float_denorm_mode_32 3
		.amdhsa_float_denorm_mode_16_64 3
		.amdhsa_dx10_clamp 1
		.amdhsa_ieee_mode 1
		.amdhsa_fp16_overflow 0
		.amdhsa_exception_fp_ieee_invalid_op 0
		.amdhsa_exception_fp_denorm_src 0
		.amdhsa_exception_fp_ieee_div_zero 0
		.amdhsa_exception_fp_ieee_overflow 0
		.amdhsa_exception_fp_ieee_underflow 0
		.amdhsa_exception_fp_ieee_inexact 0
		.amdhsa_exception_int_div_zero 0
	.end_amdhsa_kernel
	.section	.text._ZN9rocsolver6v33100L13larft_set_triIfPKPfEEv13rocblas_fill_iT0_iilPT_,"axG",@progbits,_ZN9rocsolver6v33100L13larft_set_triIfPKPfEEv13rocblas_fill_iT0_iilPT_,comdat
.Lfunc_end10:
	.size	_ZN9rocsolver6v33100L13larft_set_triIfPKPfEEv13rocblas_fill_iT0_iilPT_, .Lfunc_end10-_ZN9rocsolver6v33100L13larft_set_triIfPKPfEEv13rocblas_fill_iT0_iilPT_
                                        ; -- End function
	.set _ZN9rocsolver6v33100L13larft_set_triIfPKPfEEv13rocblas_fill_iT0_iilPT_.num_vgpr, 9
	.set _ZN9rocsolver6v33100L13larft_set_triIfPKPfEEv13rocblas_fill_iT0_iilPT_.num_agpr, 0
	.set _ZN9rocsolver6v33100L13larft_set_triIfPKPfEEv13rocblas_fill_iT0_iilPT_.numbered_sgpr, 16
	.set _ZN9rocsolver6v33100L13larft_set_triIfPKPfEEv13rocblas_fill_iT0_iilPT_.num_named_barrier, 0
	.set _ZN9rocsolver6v33100L13larft_set_triIfPKPfEEv13rocblas_fill_iT0_iilPT_.private_seg_size, 0
	.set _ZN9rocsolver6v33100L13larft_set_triIfPKPfEEv13rocblas_fill_iT0_iilPT_.uses_vcc, 1
	.set _ZN9rocsolver6v33100L13larft_set_triIfPKPfEEv13rocblas_fill_iT0_iilPT_.uses_flat_scratch, 0
	.set _ZN9rocsolver6v33100L13larft_set_triIfPKPfEEv13rocblas_fill_iT0_iilPT_.has_dyn_sized_stack, 0
	.set _ZN9rocsolver6v33100L13larft_set_triIfPKPfEEv13rocblas_fill_iT0_iilPT_.has_recursion, 0
	.set _ZN9rocsolver6v33100L13larft_set_triIfPKPfEEv13rocblas_fill_iT0_iilPT_.has_indirect_call, 0
	.section	.AMDGPU.csdata,"",@progbits
; Kernel info:
; codeLenInByte = 344
; TotalNumSgprs: 20
; NumVgprs: 9
; ScratchSize: 0
; MemoryBound: 0
; FloatMode: 240
; IeeeMode: 1
; LDSByteSize: 0 bytes/workgroup (compile time only)
; SGPRBlocks: 2
; VGPRBlocks: 2
; NumSGPRsForWavesPerEU: 20
; NumVGPRsForWavesPerEU: 9
; Occupancy: 10
; WaveLimiterHint : 1
; COMPUTE_PGM_RSRC2:SCRATCH_EN: 0
; COMPUTE_PGM_RSRC2:USER_SGPR: 6
; COMPUTE_PGM_RSRC2:TRAP_HANDLER: 0
; COMPUTE_PGM_RSRC2:TGID_X_EN: 1
; COMPUTE_PGM_RSRC2:TGID_Y_EN: 1
; COMPUTE_PGM_RSRC2:TGID_Z_EN: 1
; COMPUTE_PGM_RSRC2:TIDIG_COMP_CNT: 1
	.section	.text._ZN9rocsolver6v33100L14larft_set_diagIfEEviPT_lS3_il,"axG",@progbits,_ZN9rocsolver6v33100L14larft_set_diagIfEEviPT_lS3_il,comdat
	.globl	_ZN9rocsolver6v33100L14larft_set_diagIfEEviPT_lS3_il ; -- Begin function _ZN9rocsolver6v33100L14larft_set_diagIfEEviPT_lS3_il
	.p2align	8
	.type	_ZN9rocsolver6v33100L14larft_set_diagIfEEviPT_lS3_il,@function
_ZN9rocsolver6v33100L14larft_set_diagIfEEviPT_lS3_il: ; @_ZN9rocsolver6v33100L14larft_set_diagIfEEviPT_lS3_il
; %bb.0:
	s_load_dword s0, s[4:5], 0x3c
	s_load_dword s1, s[4:5], 0x0
	s_waitcnt lgkmcnt(0)
	s_and_b32 s0, s0, 0xffff
	s_mul_i32 s6, s6, s0
	v_add_u32_e32 v0, s6, v0
	v_cmp_gt_u32_e32 vcc, s1, v0
	s_and_saveexec_b64 s[0:1], vcc
	s_cbranch_execz .LBB11_2
; %bb.1:
	s_load_dwordx4 s[0:3], s[4:5], 0x8
	s_load_dwordx2 s[8:9], s[4:5], 0x18
	v_mov_b32_e32 v1, 0
	v_lshlrev_b64 v[2:3], 2, v[0:1]
	s_waitcnt lgkmcnt(0)
	s_mul_i32 s3, s3, s7
	s_mul_hi_u32 s6, s2, s7
	s_mul_i32 s2, s2, s7
	s_add_i32 s3, s6, s3
	s_lshl_b64 s[2:3], s[2:3], 2
	s_add_u32 s0, s0, s2
	s_addc_u32 s1, s1, s3
	v_mov_b32_e32 v4, s1
	v_add_co_u32_e32 v2, vcc, s0, v2
	v_addc_co_u32_e32 v3, vcc, v4, v3, vcc
	global_load_dword v4, v[2:3], off
	s_load_dword s2, s[4:5], 0x20
	s_waitcnt vmcnt(0)
	v_div_scale_f32 v2, s[0:1], v4, v4, 1.0
	v_div_scale_f32 v3, vcc, 1.0, v4, 1.0
	s_load_dwordx2 s[0:1], s[4:5], 0x28
	s_waitcnt lgkmcnt(0)
	s_mul_i32 s1, s1, s7
	s_mul_hi_u32 s4, s0, s7
	s_mul_i32 s0, s0, s7
	s_add_i32 s1, s4, s1
	s_lshl_b64 s[0:1], s[0:1], 2
	s_add_u32 s0, s8, s0
	s_addc_u32 s1, s9, s1
	v_rcp_f32_e32 v5, v2
	v_fma_f32 v6, -v2, v5, 1.0
	v_fmac_f32_e32 v5, v6, v5
	v_mul_f32_e32 v6, v3, v5
	v_fma_f32 v7, -v2, v6, v3
	v_fmac_f32_e32 v6, v7, v5
	v_fma_f32 v2, -v2, v6, v3
	v_div_fmas_f32 v5, v2, v5, v6
	v_mad_u64_u32 v[2:3], s[2:3], v0, s2, v[0:1]
	v_mov_b32_e32 v3, v1
	v_lshlrev_b64 v[0:1], 2, v[2:3]
	v_mov_b32_e32 v2, s1
	v_add_co_u32_e32 v0, vcc, s0, v0
	v_addc_co_u32_e32 v1, vcc, v2, v1, vcc
	v_div_fixup_f32 v3, v5, v4, 1.0
	global_store_dword v[0:1], v3, off
.LBB11_2:
	s_endpgm
	.section	.rodata,"a",@progbits
	.p2align	6, 0x0
	.amdhsa_kernel _ZN9rocsolver6v33100L14larft_set_diagIfEEviPT_lS3_il
		.amdhsa_group_segment_fixed_size 0
		.amdhsa_private_segment_fixed_size 0
		.amdhsa_kernarg_size 304
		.amdhsa_user_sgpr_count 6
		.amdhsa_user_sgpr_private_segment_buffer 1
		.amdhsa_user_sgpr_dispatch_ptr 0
		.amdhsa_user_sgpr_queue_ptr 0
		.amdhsa_user_sgpr_kernarg_segment_ptr 1
		.amdhsa_user_sgpr_dispatch_id 0
		.amdhsa_user_sgpr_flat_scratch_init 0
		.amdhsa_user_sgpr_private_segment_size 0
		.amdhsa_uses_dynamic_stack 0
		.amdhsa_system_sgpr_private_segment_wavefront_offset 0
		.amdhsa_system_sgpr_workgroup_id_x 1
		.amdhsa_system_sgpr_workgroup_id_y 0
		.amdhsa_system_sgpr_workgroup_id_z 1
		.amdhsa_system_sgpr_workgroup_info 0
		.amdhsa_system_vgpr_workitem_id 0
		.amdhsa_next_free_vgpr 8
		.amdhsa_next_free_sgpr 10
		.amdhsa_reserve_vcc 1
		.amdhsa_reserve_flat_scratch 0
		.amdhsa_float_round_mode_32 0
		.amdhsa_float_round_mode_16_64 0
		.amdhsa_float_denorm_mode_32 3
		.amdhsa_float_denorm_mode_16_64 3
		.amdhsa_dx10_clamp 1
		.amdhsa_ieee_mode 1
		.amdhsa_fp16_overflow 0
		.amdhsa_exception_fp_ieee_invalid_op 0
		.amdhsa_exception_fp_denorm_src 0
		.amdhsa_exception_fp_ieee_div_zero 0
		.amdhsa_exception_fp_ieee_overflow 0
		.amdhsa_exception_fp_ieee_underflow 0
		.amdhsa_exception_fp_ieee_inexact 0
		.amdhsa_exception_int_div_zero 0
	.end_amdhsa_kernel
	.section	.text._ZN9rocsolver6v33100L14larft_set_diagIfEEviPT_lS3_il,"axG",@progbits,_ZN9rocsolver6v33100L14larft_set_diagIfEEviPT_lS3_il,comdat
.Lfunc_end11:
	.size	_ZN9rocsolver6v33100L14larft_set_diagIfEEviPT_lS3_il, .Lfunc_end11-_ZN9rocsolver6v33100L14larft_set_diagIfEEviPT_lS3_il
                                        ; -- End function
	.set _ZN9rocsolver6v33100L14larft_set_diagIfEEviPT_lS3_il.num_vgpr, 8
	.set _ZN9rocsolver6v33100L14larft_set_diagIfEEviPT_lS3_il.num_agpr, 0
	.set _ZN9rocsolver6v33100L14larft_set_diagIfEEviPT_lS3_il.numbered_sgpr, 10
	.set _ZN9rocsolver6v33100L14larft_set_diagIfEEviPT_lS3_il.num_named_barrier, 0
	.set _ZN9rocsolver6v33100L14larft_set_diagIfEEviPT_lS3_il.private_seg_size, 0
	.set _ZN9rocsolver6v33100L14larft_set_diagIfEEviPT_lS3_il.uses_vcc, 1
	.set _ZN9rocsolver6v33100L14larft_set_diagIfEEviPT_lS3_il.uses_flat_scratch, 0
	.set _ZN9rocsolver6v33100L14larft_set_diagIfEEviPT_lS3_il.has_dyn_sized_stack, 0
	.set _ZN9rocsolver6v33100L14larft_set_diagIfEEviPT_lS3_il.has_recursion, 0
	.set _ZN9rocsolver6v33100L14larft_set_diagIfEEviPT_lS3_il.has_indirect_call, 0
	.section	.AMDGPU.csdata,"",@progbits
; Kernel info:
; codeLenInByte = 296
; TotalNumSgprs: 14
; NumVgprs: 8
; ScratchSize: 0
; MemoryBound: 0
; FloatMode: 240
; IeeeMode: 1
; LDSByteSize: 0 bytes/workgroup (compile time only)
; SGPRBlocks: 1
; VGPRBlocks: 1
; NumSGPRsForWavesPerEU: 14
; NumVGPRsForWavesPerEU: 8
; Occupancy: 10
; WaveLimiterHint : 0
; COMPUTE_PGM_RSRC2:SCRATCH_EN: 0
; COMPUTE_PGM_RSRC2:USER_SGPR: 6
; COMPUTE_PGM_RSRC2:TRAP_HANDLER: 0
; COMPUTE_PGM_RSRC2:TGID_X_EN: 1
; COMPUTE_PGM_RSRC2:TGID_Y_EN: 0
; COMPUTE_PGM_RSRC2:TGID_Z_EN: 1
; COMPUTE_PGM_RSRC2:TIDIG_COMP_CNT: 0
	.section	.text._ZN9rocsolver6v33100L17larft_restore_triIfPKPfEEv13rocblas_fill_iT0_iilPT_,"axG",@progbits,_ZN9rocsolver6v33100L17larft_restore_triIfPKPfEEv13rocblas_fill_iT0_iilPT_,comdat
	.globl	_ZN9rocsolver6v33100L17larft_restore_triIfPKPfEEv13rocblas_fill_iT0_iilPT_ ; -- Begin function _ZN9rocsolver6v33100L17larft_restore_triIfPKPfEEv13rocblas_fill_iT0_iilPT_
	.p2align	8
	.type	_ZN9rocsolver6v33100L17larft_restore_triIfPKPfEEv13rocblas_fill_iT0_iilPT_,@function
_ZN9rocsolver6v33100L17larft_restore_triIfPKPfEEv13rocblas_fill_iT0_iilPT_: ; @_ZN9rocsolver6v33100L17larft_restore_triIfPKPfEEv13rocblas_fill_iT0_iilPT_
; %bb.0:
	s_load_dword s0, s[4:5], 0x34
	s_load_dwordx2 s[10:11], s[4:5], 0x0
	s_waitcnt lgkmcnt(0)
	s_lshr_b32 s1, s0, 16
	s_and_b32 s0, s0, 0xffff
	s_mul_i32 s7, s7, s1
	s_mul_i32 s6, s6, s0
	v_add_u32_e32 v1, s7, v1
	v_add_u32_e32 v0, s6, v0
	v_max_u32_e32 v2, v1, v0
	v_cmp_gt_u32_e32 vcc, s11, v2
	s_and_saveexec_b64 s[0:1], vcc
	s_cbranch_execz .LBB12_3
; %bb.1:
	s_cmpk_lg_i32 s10, 0x7a
	s_cselect_b64 s[0:1], -1, 0
	s_cmpk_lg_i32 s10, 0x79
	s_cselect_b64 s[2:3], -1, 0
	v_cmp_lt_u32_e32 vcc, v1, v0
	s_or_b64 s[2:3], s[2:3], vcc
	v_cmp_lt_u32_e32 vcc, v0, v1
	s_or_b64 s[0:1], s[0:1], vcc
	s_and_b64 s[0:1], s[2:3], s[0:1]
	s_xor_b64 s[0:1], s[0:1], -1
	s_and_b64 exec, exec, s[0:1]
	s_cbranch_execz .LBB12_3
; %bb.2:
	s_load_dwordx4 s[0:3], s[4:5], 0x8
	s_load_dwordx2 s[6:7], s[4:5], 0x20
	s_mov_b32 s9, 0
	s_ashr_i32 s10, s11, 31
	s_lshl_b64 s[4:5], s[8:9], 3
	s_waitcnt lgkmcnt(0)
	s_ashr_i32 s13, s2, 31
	s_add_u32 s0, s0, s4
	s_addc_u32 s1, s1, s5
	s_load_dwordx2 s[0:1], s[0:1], 0x0
	s_mov_b32 s12, s2
	s_lshl_b64 s[4:5], s[12:13], 2
	s_mul_hi_u32 s9, s11, s8
	s_mul_i32 s14, s10, s8
	s_waitcnt lgkmcnt(0)
	s_add_u32 s2, s0, s4
	s_mul_i32 s4, s11, s8
	s_addc_u32 s12, s1, s5
	s_add_i32 s0, s9, s14
	s_mul_i32 s1, s4, s10
	s_mul_hi_u32 s5, s4, s11
	s_add_i32 s1, s5, s1
	s_mul_i32 s0, s0, s11
	s_add_i32 s1, s1, s0
	s_mul_i32 s0, s4, s11
	v_mad_u64_u32 v[2:3], s[4:5], v1, s11, v[0:1]
	s_lshl_b64 s[0:1], s[0:1], 2
	v_mov_b32_e32 v3, 0
	s_add_u32 s0, s6, s0
	v_lshlrev_b64 v[4:5], 2, v[2:3]
	s_addc_u32 s1, s7, s1
	v_mov_b32_e32 v2, s1
	v_add_co_u32_e32 v4, vcc, s0, v4
	v_addc_co_u32_e32 v5, vcc, v2, v5, vcc
	global_load_dword v2, v[4:5], off
	v_mad_u64_u32 v[0:1], s[0:1], v1, s3, v[0:1]
	v_mov_b32_e32 v1, v3
	v_mov_b32_e32 v3, s12
	v_lshlrev_b64 v[0:1], 2, v[0:1]
	v_add_co_u32_e32 v0, vcc, s2, v0
	v_addc_co_u32_e32 v1, vcc, v3, v1, vcc
	s_waitcnt vmcnt(0)
	flat_store_dword v[0:1], v2
.LBB12_3:
	s_endpgm
	.section	.rodata,"a",@progbits
	.p2align	6, 0x0
	.amdhsa_kernel _ZN9rocsolver6v33100L17larft_restore_triIfPKPfEEv13rocblas_fill_iT0_iilPT_
		.amdhsa_group_segment_fixed_size 0
		.amdhsa_private_segment_fixed_size 0
		.amdhsa_kernarg_size 296
		.amdhsa_user_sgpr_count 6
		.amdhsa_user_sgpr_private_segment_buffer 1
		.amdhsa_user_sgpr_dispatch_ptr 0
		.amdhsa_user_sgpr_queue_ptr 0
		.amdhsa_user_sgpr_kernarg_segment_ptr 1
		.amdhsa_user_sgpr_dispatch_id 0
		.amdhsa_user_sgpr_flat_scratch_init 0
		.amdhsa_user_sgpr_private_segment_size 0
		.amdhsa_uses_dynamic_stack 0
		.amdhsa_system_sgpr_private_segment_wavefront_offset 0
		.amdhsa_system_sgpr_workgroup_id_x 1
		.amdhsa_system_sgpr_workgroup_id_y 1
		.amdhsa_system_sgpr_workgroup_id_z 1
		.amdhsa_system_sgpr_workgroup_info 0
		.amdhsa_system_vgpr_workitem_id 1
		.amdhsa_next_free_vgpr 6
		.amdhsa_next_free_sgpr 15
		.amdhsa_reserve_vcc 1
		.amdhsa_reserve_flat_scratch 0
		.amdhsa_float_round_mode_32 0
		.amdhsa_float_round_mode_16_64 0
		.amdhsa_float_denorm_mode_32 3
		.amdhsa_float_denorm_mode_16_64 3
		.amdhsa_dx10_clamp 1
		.amdhsa_ieee_mode 1
		.amdhsa_fp16_overflow 0
		.amdhsa_exception_fp_ieee_invalid_op 0
		.amdhsa_exception_fp_denorm_src 0
		.amdhsa_exception_fp_ieee_div_zero 0
		.amdhsa_exception_fp_ieee_overflow 0
		.amdhsa_exception_fp_ieee_underflow 0
		.amdhsa_exception_fp_ieee_inexact 0
		.amdhsa_exception_int_div_zero 0
	.end_amdhsa_kernel
	.section	.text._ZN9rocsolver6v33100L17larft_restore_triIfPKPfEEv13rocblas_fill_iT0_iilPT_,"axG",@progbits,_ZN9rocsolver6v33100L17larft_restore_triIfPKPfEEv13rocblas_fill_iT0_iilPT_,comdat
.Lfunc_end12:
	.size	_ZN9rocsolver6v33100L17larft_restore_triIfPKPfEEv13rocblas_fill_iT0_iilPT_, .Lfunc_end12-_ZN9rocsolver6v33100L17larft_restore_triIfPKPfEEv13rocblas_fill_iT0_iilPT_
                                        ; -- End function
	.set _ZN9rocsolver6v33100L17larft_restore_triIfPKPfEEv13rocblas_fill_iT0_iilPT_.num_vgpr, 6
	.set _ZN9rocsolver6v33100L17larft_restore_triIfPKPfEEv13rocblas_fill_iT0_iilPT_.num_agpr, 0
	.set _ZN9rocsolver6v33100L17larft_restore_triIfPKPfEEv13rocblas_fill_iT0_iilPT_.numbered_sgpr, 15
	.set _ZN9rocsolver6v33100L17larft_restore_triIfPKPfEEv13rocblas_fill_iT0_iilPT_.num_named_barrier, 0
	.set _ZN9rocsolver6v33100L17larft_restore_triIfPKPfEEv13rocblas_fill_iT0_iilPT_.private_seg_size, 0
	.set _ZN9rocsolver6v33100L17larft_restore_triIfPKPfEEv13rocblas_fill_iT0_iilPT_.uses_vcc, 1
	.set _ZN9rocsolver6v33100L17larft_restore_triIfPKPfEEv13rocblas_fill_iT0_iilPT_.uses_flat_scratch, 0
	.set _ZN9rocsolver6v33100L17larft_restore_triIfPKPfEEv13rocblas_fill_iT0_iilPT_.has_dyn_sized_stack, 0
	.set _ZN9rocsolver6v33100L17larft_restore_triIfPKPfEEv13rocblas_fill_iT0_iilPT_.has_recursion, 0
	.set _ZN9rocsolver6v33100L17larft_restore_triIfPKPfEEv13rocblas_fill_iT0_iilPT_.has_indirect_call, 0
	.section	.AMDGPU.csdata,"",@progbits
; Kernel info:
; codeLenInByte = 324
; TotalNumSgprs: 19
; NumVgprs: 6
; ScratchSize: 0
; MemoryBound: 0
; FloatMode: 240
; IeeeMode: 1
; LDSByteSize: 0 bytes/workgroup (compile time only)
; SGPRBlocks: 2
; VGPRBlocks: 1
; NumSGPRsForWavesPerEU: 19
; NumVGPRsForWavesPerEU: 6
; Occupancy: 10
; WaveLimiterHint : 1
; COMPUTE_PGM_RSRC2:SCRATCH_EN: 0
; COMPUTE_PGM_RSRC2:USER_SGPR: 6
; COMPUTE_PGM_RSRC2:TRAP_HANDLER: 0
; COMPUTE_PGM_RSRC2:TGID_X_EN: 1
; COMPUTE_PGM_RSRC2:TGID_Y_EN: 1
; COMPUTE_PGM_RSRC2:TGID_Z_EN: 1
; COMPUTE_PGM_RSRC2:TIDIG_COMP_CNT: 1
	.section	.text._ZN9rocsolver6v33100L9copymatA1IfPKPfEEviiT0_iilPT_,"axG",@progbits,_ZN9rocsolver6v33100L9copymatA1IfPKPfEEviiT0_iilPT_,comdat
	.globl	_ZN9rocsolver6v33100L9copymatA1IfPKPfEEviiT0_iilPT_ ; -- Begin function _ZN9rocsolver6v33100L9copymatA1IfPKPfEEviiT0_iilPT_
	.p2align	8
	.type	_ZN9rocsolver6v33100L9copymatA1IfPKPfEEviiT0_iilPT_,@function
_ZN9rocsolver6v33100L9copymatA1IfPKPfEEviiT0_iilPT_: ; @_ZN9rocsolver6v33100L9copymatA1IfPKPfEEviiT0_iilPT_
; %bb.0:
	s_load_dword s0, s[4:5], 0x34
	s_load_dwordx2 s[2:3], s[4:5], 0x0
	s_waitcnt lgkmcnt(0)
	s_lshr_b32 s1, s0, 16
	s_and_b32 s0, s0, 0xffff
	s_mul_i32 s6, s6, s0
	s_mul_i32 s7, s7, s1
	v_add_u32_e32 v2, s6, v0
	v_add_u32_e32 v0, s7, v1
	v_cmp_gt_u32_e32 vcc, s2, v0
	v_cmp_gt_u32_e64 s[0:1], s3, v2
	s_and_b64 s[0:1], s[0:1], vcc
	s_and_saveexec_b64 s[6:7], s[0:1]
	s_cbranch_execz .LBB13_2
; %bb.1:
	s_load_dwordx4 s[12:15], s[4:5], 0x8
	s_load_dwordx2 s[0:1], s[4:5], 0x20
	s_ashr_i32 s4, s2, 31
	s_mul_hi_u32 s6, s2, s8
	s_mul_i32 s4, s4, s8
	s_ashr_i32 s5, s3, 31
	s_add_i32 s4, s6, s4
	s_mul_i32 s6, s2, s8
	s_mul_i32 s5, s6, s5
	s_mul_hi_u32 s7, s6, s3
	s_add_i32 s5, s7, s5
	s_mul_i32 s4, s4, s3
	s_add_i32 s5, s5, s4
	s_mul_i32 s4, s6, s3
	s_lshl_b64 s[4:5], s[4:5], 2
	s_mov_b32 s9, 0
	s_waitcnt lgkmcnt(0)
	s_add_u32 s3, s0, s4
	s_addc_u32 s10, s1, s5
	s_ashr_i32 s1, s14, 31
	s_lshl_b64 s[4:5], s[8:9], 3
	s_add_u32 s4, s12, s4
	s_addc_u32 s5, s13, s5
	s_load_dwordx2 s[4:5], s[4:5], 0x0
	v_mad_u64_u32 v[3:4], s[6:7], v2, s15, v[0:1]
	s_mov_b32 s0, s14
	s_lshl_b64 s[0:1], s[0:1], 2
	v_mov_b32_e32 v4, 0
	s_waitcnt lgkmcnt(0)
	s_add_u32 s0, s4, s0
	v_lshlrev_b64 v[5:6], 2, v[3:4]
	s_addc_u32 s1, s5, s1
	v_mov_b32_e32 v1, s1
	v_add_co_u32_e32 v5, vcc, s0, v5
	v_addc_co_u32_e32 v6, vcc, v1, v6, vcc
	flat_load_dword v3, v[5:6]
	v_mad_u64_u32 v[0:1], s[0:1], v2, s2, v[0:1]
	v_mov_b32_e32 v1, v4
	v_mov_b32_e32 v2, s10
	v_lshlrev_b64 v[0:1], 2, v[0:1]
	v_add_co_u32_e32 v0, vcc, s3, v0
	v_addc_co_u32_e32 v1, vcc, v2, v1, vcc
	s_waitcnt vmcnt(0) lgkmcnt(0)
	global_store_dword v[0:1], v3, off
.LBB13_2:
	s_endpgm
	.section	.rodata,"a",@progbits
	.p2align	6, 0x0
	.amdhsa_kernel _ZN9rocsolver6v33100L9copymatA1IfPKPfEEviiT0_iilPT_
		.amdhsa_group_segment_fixed_size 0
		.amdhsa_private_segment_fixed_size 0
		.amdhsa_kernarg_size 296
		.amdhsa_user_sgpr_count 6
		.amdhsa_user_sgpr_private_segment_buffer 1
		.amdhsa_user_sgpr_dispatch_ptr 0
		.amdhsa_user_sgpr_queue_ptr 0
		.amdhsa_user_sgpr_kernarg_segment_ptr 1
		.amdhsa_user_sgpr_dispatch_id 0
		.amdhsa_user_sgpr_flat_scratch_init 0
		.amdhsa_user_sgpr_private_segment_size 0
		.amdhsa_uses_dynamic_stack 0
		.amdhsa_system_sgpr_private_segment_wavefront_offset 0
		.amdhsa_system_sgpr_workgroup_id_x 1
		.amdhsa_system_sgpr_workgroup_id_y 1
		.amdhsa_system_sgpr_workgroup_id_z 1
		.amdhsa_system_sgpr_workgroup_info 0
		.amdhsa_system_vgpr_workitem_id 1
		.amdhsa_next_free_vgpr 7
		.amdhsa_next_free_sgpr 16
		.amdhsa_reserve_vcc 1
		.amdhsa_reserve_flat_scratch 0
		.amdhsa_float_round_mode_32 0
		.amdhsa_float_round_mode_16_64 0
		.amdhsa_float_denorm_mode_32 3
		.amdhsa_float_denorm_mode_16_64 3
		.amdhsa_dx10_clamp 1
		.amdhsa_ieee_mode 1
		.amdhsa_fp16_overflow 0
		.amdhsa_exception_fp_ieee_invalid_op 0
		.amdhsa_exception_fp_denorm_src 0
		.amdhsa_exception_fp_ieee_div_zero 0
		.amdhsa_exception_fp_ieee_overflow 0
		.amdhsa_exception_fp_ieee_underflow 0
		.amdhsa_exception_fp_ieee_inexact 0
		.amdhsa_exception_int_div_zero 0
	.end_amdhsa_kernel
	.section	.text._ZN9rocsolver6v33100L9copymatA1IfPKPfEEviiT0_iilPT_,"axG",@progbits,_ZN9rocsolver6v33100L9copymatA1IfPKPfEEviiT0_iilPT_,comdat
.Lfunc_end13:
	.size	_ZN9rocsolver6v33100L9copymatA1IfPKPfEEviiT0_iilPT_, .Lfunc_end13-_ZN9rocsolver6v33100L9copymatA1IfPKPfEEviiT0_iilPT_
                                        ; -- End function
	.set _ZN9rocsolver6v33100L9copymatA1IfPKPfEEviiT0_iilPT_.num_vgpr, 7
	.set _ZN9rocsolver6v33100L9copymatA1IfPKPfEEviiT0_iilPT_.num_agpr, 0
	.set _ZN9rocsolver6v33100L9copymatA1IfPKPfEEviiT0_iilPT_.numbered_sgpr, 16
	.set _ZN9rocsolver6v33100L9copymatA1IfPKPfEEviiT0_iilPT_.num_named_barrier, 0
	.set _ZN9rocsolver6v33100L9copymatA1IfPKPfEEviiT0_iilPT_.private_seg_size, 0
	.set _ZN9rocsolver6v33100L9copymatA1IfPKPfEEviiT0_iilPT_.uses_vcc, 1
	.set _ZN9rocsolver6v33100L9copymatA1IfPKPfEEviiT0_iilPT_.uses_flat_scratch, 0
	.set _ZN9rocsolver6v33100L9copymatA1IfPKPfEEviiT0_iilPT_.has_dyn_sized_stack, 0
	.set _ZN9rocsolver6v33100L9copymatA1IfPKPfEEviiT0_iilPT_.has_recursion, 0
	.set _ZN9rocsolver6v33100L9copymatA1IfPKPfEEviiT0_iilPT_.has_indirect_call, 0
	.section	.AMDGPU.csdata,"",@progbits
; Kernel info:
; codeLenInByte = 288
; TotalNumSgprs: 20
; NumVgprs: 7
; ScratchSize: 0
; MemoryBound: 0
; FloatMode: 240
; IeeeMode: 1
; LDSByteSize: 0 bytes/workgroup (compile time only)
; SGPRBlocks: 2
; VGPRBlocks: 1
; NumSGPRsForWavesPerEU: 20
; NumVGPRsForWavesPerEU: 7
; Occupancy: 10
; WaveLimiterHint : 1
; COMPUTE_PGM_RSRC2:SCRATCH_EN: 0
; COMPUTE_PGM_RSRC2:USER_SGPR: 6
; COMPUTE_PGM_RSRC2:TRAP_HANDLER: 0
; COMPUTE_PGM_RSRC2:TGID_X_EN: 1
; COMPUTE_PGM_RSRC2:TGID_Y_EN: 1
; COMPUTE_PGM_RSRC2:TGID_Z_EN: 1
; COMPUTE_PGM_RSRC2:TIDIG_COMP_CNT: 1
	.section	.text._ZN9rocsolver6v33100L8addmatA1IfPKPfEEviiT0_iilPT_,"axG",@progbits,_ZN9rocsolver6v33100L8addmatA1IfPKPfEEviiT0_iilPT_,comdat
	.globl	_ZN9rocsolver6v33100L8addmatA1IfPKPfEEviiT0_iilPT_ ; -- Begin function _ZN9rocsolver6v33100L8addmatA1IfPKPfEEviiT0_iilPT_
	.p2align	8
	.type	_ZN9rocsolver6v33100L8addmatA1IfPKPfEEviiT0_iilPT_,@function
_ZN9rocsolver6v33100L8addmatA1IfPKPfEEviiT0_iilPT_: ; @_ZN9rocsolver6v33100L8addmatA1IfPKPfEEviiT0_iilPT_
; %bb.0:
	s_load_dword s0, s[4:5], 0x34
	s_load_dwordx2 s[10:11], s[4:5], 0x0
	s_waitcnt lgkmcnt(0)
	s_lshr_b32 s1, s0, 16
	s_and_b32 s0, s0, 0xffff
	s_mul_i32 s6, s6, s0
	s_mul_i32 s7, s7, s1
	v_add_u32_e32 v2, s6, v0
	v_add_u32_e32 v0, s7, v1
	v_cmp_gt_u32_e32 vcc, s10, v0
	v_cmp_gt_u32_e64 s[0:1], s11, v2
	s_and_b64 s[0:1], s[0:1], vcc
	s_and_saveexec_b64 s[2:3], s[0:1]
	s_cbranch_execz .LBB14_2
; %bb.1:
	s_load_dwordx4 s[0:3], s[4:5], 0x8
	s_load_dwordx2 s[6:7], s[4:5], 0x20
	s_ashr_i32 s4, s10, 31
	s_mul_hi_u32 s12, s10, s8
	s_mul_i32 s4, s4, s8
	s_ashr_i32 s5, s11, 31
	s_add_i32 s4, s12, s4
	s_mul_i32 s12, s10, s8
	s_mul_i32 s5, s12, s5
	s_mul_hi_u32 s13, s12, s11
	s_add_i32 s5, s13, s5
	s_mul_i32 s4, s4, s11
	s_add_i32 s5, s5, s4
	s_mul_i32 s4, s12, s11
	s_lshl_b64 s[4:5], s[4:5], 2
	s_mov_b32 s9, 0
	s_waitcnt lgkmcnt(0)
	s_add_u32 s11, s6, s4
	s_addc_u32 s12, s7, s5
	s_ashr_i32 s5, s2, 31
	s_lshl_b64 s[6:7], s[8:9], 3
	s_add_u32 s0, s0, s6
	s_addc_u32 s1, s1, s7
	s_load_dwordx2 s[0:1], s[0:1], 0x0
	v_mad_u64_u32 v[3:4], s[6:7], v2, s10, v[0:1]
	s_mov_b32 s4, s2
	s_lshl_b64 s[4:5], s[4:5], 2
	v_mov_b32_e32 v4, 0
	s_waitcnt lgkmcnt(0)
	s_add_u32 s2, s0, s4
	v_lshlrev_b64 v[5:6], 2, v[3:4]
	s_addc_u32 s4, s1, s5
	v_mad_u64_u32 v[0:1], s[0:1], v2, s3, v[0:1]
	v_mov_b32_e32 v3, s12
	v_add_co_u32_e32 v1, vcc, s11, v5
	v_addc_co_u32_e32 v2, vcc, v3, v6, vcc
	global_load_dword v2, v[1:2], off
	v_mov_b32_e32 v1, v4
	v_lshlrev_b64 v[0:1], 2, v[0:1]
	v_mov_b32_e32 v3, s4
	v_add_co_u32_e32 v0, vcc, s2, v0
	v_addc_co_u32_e32 v1, vcc, v3, v1, vcc
	flat_load_dword v3, v[0:1]
	s_waitcnt vmcnt(0) lgkmcnt(0)
	v_sub_f32_e32 v2, v3, v2
	flat_store_dword v[0:1], v2
.LBB14_2:
	s_endpgm
	.section	.rodata,"a",@progbits
	.p2align	6, 0x0
	.amdhsa_kernel _ZN9rocsolver6v33100L8addmatA1IfPKPfEEviiT0_iilPT_
		.amdhsa_group_segment_fixed_size 0
		.amdhsa_private_segment_fixed_size 0
		.amdhsa_kernarg_size 296
		.amdhsa_user_sgpr_count 6
		.amdhsa_user_sgpr_private_segment_buffer 1
		.amdhsa_user_sgpr_dispatch_ptr 0
		.amdhsa_user_sgpr_queue_ptr 0
		.amdhsa_user_sgpr_kernarg_segment_ptr 1
		.amdhsa_user_sgpr_dispatch_id 0
		.amdhsa_user_sgpr_flat_scratch_init 0
		.amdhsa_user_sgpr_private_segment_size 0
		.amdhsa_uses_dynamic_stack 0
		.amdhsa_system_sgpr_private_segment_wavefront_offset 0
		.amdhsa_system_sgpr_workgroup_id_x 1
		.amdhsa_system_sgpr_workgroup_id_y 1
		.amdhsa_system_sgpr_workgroup_id_z 1
		.amdhsa_system_sgpr_workgroup_info 0
		.amdhsa_system_vgpr_workitem_id 1
		.amdhsa_next_free_vgpr 7
		.amdhsa_next_free_sgpr 14
		.amdhsa_reserve_vcc 1
		.amdhsa_reserve_flat_scratch 0
		.amdhsa_float_round_mode_32 0
		.amdhsa_float_round_mode_16_64 0
		.amdhsa_float_denorm_mode_32 3
		.amdhsa_float_denorm_mode_16_64 3
		.amdhsa_dx10_clamp 1
		.amdhsa_ieee_mode 1
		.amdhsa_fp16_overflow 0
		.amdhsa_exception_fp_ieee_invalid_op 0
		.amdhsa_exception_fp_denorm_src 0
		.amdhsa_exception_fp_ieee_div_zero 0
		.amdhsa_exception_fp_ieee_overflow 0
		.amdhsa_exception_fp_ieee_underflow 0
		.amdhsa_exception_fp_ieee_inexact 0
		.amdhsa_exception_int_div_zero 0
	.end_amdhsa_kernel
	.section	.text._ZN9rocsolver6v33100L8addmatA1IfPKPfEEviiT0_iilPT_,"axG",@progbits,_ZN9rocsolver6v33100L8addmatA1IfPKPfEEviiT0_iilPT_,comdat
.Lfunc_end14:
	.size	_ZN9rocsolver6v33100L8addmatA1IfPKPfEEviiT0_iilPT_, .Lfunc_end14-_ZN9rocsolver6v33100L8addmatA1IfPKPfEEviiT0_iilPT_
                                        ; -- End function
	.set _ZN9rocsolver6v33100L8addmatA1IfPKPfEEviiT0_iilPT_.num_vgpr, 7
	.set _ZN9rocsolver6v33100L8addmatA1IfPKPfEEviiT0_iilPT_.num_agpr, 0
	.set _ZN9rocsolver6v33100L8addmatA1IfPKPfEEviiT0_iilPT_.numbered_sgpr, 14
	.set _ZN9rocsolver6v33100L8addmatA1IfPKPfEEviiT0_iilPT_.num_named_barrier, 0
	.set _ZN9rocsolver6v33100L8addmatA1IfPKPfEEviiT0_iilPT_.private_seg_size, 0
	.set _ZN9rocsolver6v33100L8addmatA1IfPKPfEEviiT0_iilPT_.uses_vcc, 1
	.set _ZN9rocsolver6v33100L8addmatA1IfPKPfEEviiT0_iilPT_.uses_flat_scratch, 0
	.set _ZN9rocsolver6v33100L8addmatA1IfPKPfEEviiT0_iilPT_.has_dyn_sized_stack, 0
	.set _ZN9rocsolver6v33100L8addmatA1IfPKPfEEviiT0_iilPT_.has_recursion, 0
	.set _ZN9rocsolver6v33100L8addmatA1IfPKPfEEviiT0_iilPT_.has_indirect_call, 0
	.section	.AMDGPU.csdata,"",@progbits
; Kernel info:
; codeLenInByte = 300
; TotalNumSgprs: 18
; NumVgprs: 7
; ScratchSize: 0
; MemoryBound: 0
; FloatMode: 240
; IeeeMode: 1
; LDSByteSize: 0 bytes/workgroup (compile time only)
; SGPRBlocks: 2
; VGPRBlocks: 1
; NumSGPRsForWavesPerEU: 18
; NumVGPRsForWavesPerEU: 7
; Occupancy: 10
; WaveLimiterHint : 1
; COMPUTE_PGM_RSRC2:SCRATCH_EN: 0
; COMPUTE_PGM_RSRC2:USER_SGPR: 6
; COMPUTE_PGM_RSRC2:TRAP_HANDLER: 0
; COMPUTE_PGM_RSRC2:TGID_X_EN: 1
; COMPUTE_PGM_RSRC2:TGID_Y_EN: 1
; COMPUTE_PGM_RSRC2:TGID_Z_EN: 1
; COMPUTE_PGM_RSRC2:TIDIG_COMP_CNT: 1
	.section	.text._ZN9rocsolver6v33100L18copy_array_to_ptrsIfEEvlPKPT_S3_,"axG",@progbits,_ZN9rocsolver6v33100L18copy_array_to_ptrsIfEEvlPKPT_S3_,comdat
	.globl	_ZN9rocsolver6v33100L18copy_array_to_ptrsIfEEvlPKPT_S3_ ; -- Begin function _ZN9rocsolver6v33100L18copy_array_to_ptrsIfEEvlPKPT_S3_
	.p2align	8
	.type	_ZN9rocsolver6v33100L18copy_array_to_ptrsIfEEvlPKPT_S3_,@function
_ZN9rocsolver6v33100L18copy_array_to_ptrsIfEEvlPKPT_S3_: ; @_ZN9rocsolver6v33100L18copy_array_to_ptrsIfEEvlPKPT_S3_
; %bb.0:
	s_mov_b32 s8, s7
	s_load_dword s7, s[4:5], 0x24
	s_load_dwordx4 s[0:3], s[4:5], 0x0
	s_waitcnt lgkmcnt(0)
	s_and_b32 s7, s7, 0xffff
	s_mul_i32 s6, s6, s7
	v_add_u32_e32 v0, s6, v0
	v_ashrrev_i32_e32 v1, 31, v0
	v_cmp_gt_i64_e32 vcc, s[0:1], v[0:1]
	s_and_saveexec_b64 s[6:7], vcc
	s_cbranch_execz .LBB15_2
; %bb.1:
	s_load_dwordx2 s[4:5], s[4:5], 0x10
	s_ashr_i32 s9, s8, 31
	s_mul_hi_u32 s6, s0, s8
	s_mul_i32 s7, s0, s9
	s_add_i32 s6, s6, s7
	s_mul_i32 s1, s1, s8
	s_add_i32 s1, s6, s1
	s_mul_i32 s0, s0, s8
	s_lshl_b64 s[0:1], s[0:1], 2
	s_waitcnt lgkmcnt(0)
	s_add_u32 s0, s4, s0
	v_lshlrev_b64 v[0:1], 2, v[0:1]
	s_addc_u32 s1, s5, s1
	v_mov_b32_e32 v3, s1
	v_add_co_u32_e32 v2, vcc, s0, v0
	v_addc_co_u32_e32 v3, vcc, v3, v1, vcc
	global_load_dword v2, v[2:3], off
	s_lshl_b64 s[0:1], s[8:9], 3
	s_add_u32 s0, s2, s0
	s_addc_u32 s1, s3, s1
	s_load_dwordx2 s[0:1], s[0:1], 0x0
	s_waitcnt lgkmcnt(0)
	v_mov_b32_e32 v3, s1
	v_add_co_u32_e32 v0, vcc, s0, v0
	v_addc_co_u32_e32 v1, vcc, v3, v1, vcc
	s_waitcnt vmcnt(0)
	flat_store_dword v[0:1], v2
.LBB15_2:
	s_endpgm
	.section	.rodata,"a",@progbits
	.p2align	6, 0x0
	.amdhsa_kernel _ZN9rocsolver6v33100L18copy_array_to_ptrsIfEEvlPKPT_S3_
		.amdhsa_group_segment_fixed_size 0
		.amdhsa_private_segment_fixed_size 0
		.amdhsa_kernarg_size 280
		.amdhsa_user_sgpr_count 6
		.amdhsa_user_sgpr_private_segment_buffer 1
		.amdhsa_user_sgpr_dispatch_ptr 0
		.amdhsa_user_sgpr_queue_ptr 0
		.amdhsa_user_sgpr_kernarg_segment_ptr 1
		.amdhsa_user_sgpr_dispatch_id 0
		.amdhsa_user_sgpr_flat_scratch_init 0
		.amdhsa_user_sgpr_private_segment_size 0
		.amdhsa_uses_dynamic_stack 0
		.amdhsa_system_sgpr_private_segment_wavefront_offset 0
		.amdhsa_system_sgpr_workgroup_id_x 1
		.amdhsa_system_sgpr_workgroup_id_y 1
		.amdhsa_system_sgpr_workgroup_id_z 0
		.amdhsa_system_sgpr_workgroup_info 0
		.amdhsa_system_vgpr_workitem_id 0
		.amdhsa_next_free_vgpr 4
		.amdhsa_next_free_sgpr 10
		.amdhsa_reserve_vcc 1
		.amdhsa_reserve_flat_scratch 0
		.amdhsa_float_round_mode_32 0
		.amdhsa_float_round_mode_16_64 0
		.amdhsa_float_denorm_mode_32 3
		.amdhsa_float_denorm_mode_16_64 3
		.amdhsa_dx10_clamp 1
		.amdhsa_ieee_mode 1
		.amdhsa_fp16_overflow 0
		.amdhsa_exception_fp_ieee_invalid_op 0
		.amdhsa_exception_fp_denorm_src 0
		.amdhsa_exception_fp_ieee_div_zero 0
		.amdhsa_exception_fp_ieee_overflow 0
		.amdhsa_exception_fp_ieee_underflow 0
		.amdhsa_exception_fp_ieee_inexact 0
		.amdhsa_exception_int_div_zero 0
	.end_amdhsa_kernel
	.section	.text._ZN9rocsolver6v33100L18copy_array_to_ptrsIfEEvlPKPT_S3_,"axG",@progbits,_ZN9rocsolver6v33100L18copy_array_to_ptrsIfEEvlPKPT_S3_,comdat
.Lfunc_end15:
	.size	_ZN9rocsolver6v33100L18copy_array_to_ptrsIfEEvlPKPT_S3_, .Lfunc_end15-_ZN9rocsolver6v33100L18copy_array_to_ptrsIfEEvlPKPT_S3_
                                        ; -- End function
	.set _ZN9rocsolver6v33100L18copy_array_to_ptrsIfEEvlPKPT_S3_.num_vgpr, 4
	.set _ZN9rocsolver6v33100L18copy_array_to_ptrsIfEEvlPKPT_S3_.num_agpr, 0
	.set _ZN9rocsolver6v33100L18copy_array_to_ptrsIfEEvlPKPT_S3_.numbered_sgpr, 10
	.set _ZN9rocsolver6v33100L18copy_array_to_ptrsIfEEvlPKPT_S3_.num_named_barrier, 0
	.set _ZN9rocsolver6v33100L18copy_array_to_ptrsIfEEvlPKPT_S3_.private_seg_size, 0
	.set _ZN9rocsolver6v33100L18copy_array_to_ptrsIfEEvlPKPT_S3_.uses_vcc, 1
	.set _ZN9rocsolver6v33100L18copy_array_to_ptrsIfEEvlPKPT_S3_.uses_flat_scratch, 0
	.set _ZN9rocsolver6v33100L18copy_array_to_ptrsIfEEvlPKPT_S3_.has_dyn_sized_stack, 0
	.set _ZN9rocsolver6v33100L18copy_array_to_ptrsIfEEvlPKPT_S3_.has_recursion, 0
	.set _ZN9rocsolver6v33100L18copy_array_to_ptrsIfEEvlPKPT_S3_.has_indirect_call, 0
	.section	.AMDGPU.csdata,"",@progbits
; Kernel info:
; codeLenInByte = 188
; TotalNumSgprs: 14
; NumVgprs: 4
; ScratchSize: 0
; MemoryBound: 0
; FloatMode: 240
; IeeeMode: 1
; LDSByteSize: 0 bytes/workgroup (compile time only)
; SGPRBlocks: 1
; VGPRBlocks: 0
; NumSGPRsForWavesPerEU: 14
; NumVGPRsForWavesPerEU: 4
; Occupancy: 10
; WaveLimiterHint : 1
; COMPUTE_PGM_RSRC2:SCRATCH_EN: 0
; COMPUTE_PGM_RSRC2:USER_SGPR: 6
; COMPUTE_PGM_RSRC2:TRAP_HANDLER: 0
; COMPUTE_PGM_RSRC2:TGID_X_EN: 1
; COMPUTE_PGM_RSRC2:TGID_Y_EN: 1
; COMPUTE_PGM_RSRC2:TGID_Z_EN: 0
; COMPUTE_PGM_RSRC2:TIDIG_COMP_CNT: 0
	.section	.text._ZN9rocsolver6v33100L6iota_nIdEEvPT_jS2_,"axG",@progbits,_ZN9rocsolver6v33100L6iota_nIdEEvPT_jS2_,comdat
	.globl	_ZN9rocsolver6v33100L6iota_nIdEEvPT_jS2_ ; -- Begin function _ZN9rocsolver6v33100L6iota_nIdEEvPT_jS2_
	.p2align	8
	.type	_ZN9rocsolver6v33100L6iota_nIdEEvPT_jS2_,@function
_ZN9rocsolver6v33100L6iota_nIdEEvPT_jS2_: ; @_ZN9rocsolver6v33100L6iota_nIdEEvPT_jS2_
; %bb.0:
	s_load_dword s0, s[4:5], 0x8
	s_waitcnt lgkmcnt(0)
	v_cmp_gt_u32_e32 vcc, s0, v0
	s_and_saveexec_b64 s[0:1], vcc
	s_cbranch_execz .LBB16_2
; %bb.1:
	s_load_dwordx2 s[0:1], s[4:5], 0x10
	v_cvt_f64_u32_e32 v[1:2], v0
	v_lshlrev_b32_e32 v0, 3, v0
	s_waitcnt lgkmcnt(0)
	v_add_f64 v[1:2], s[0:1], v[1:2]
	s_load_dwordx2 s[0:1], s[4:5], 0x0
	s_waitcnt lgkmcnt(0)
	global_store_dwordx2 v0, v[1:2], s[0:1]
.LBB16_2:
	s_endpgm
	.section	.rodata,"a",@progbits
	.p2align	6, 0x0
	.amdhsa_kernel _ZN9rocsolver6v33100L6iota_nIdEEvPT_jS2_
		.amdhsa_group_segment_fixed_size 0
		.amdhsa_private_segment_fixed_size 0
		.amdhsa_kernarg_size 24
		.amdhsa_user_sgpr_count 6
		.amdhsa_user_sgpr_private_segment_buffer 1
		.amdhsa_user_sgpr_dispatch_ptr 0
		.amdhsa_user_sgpr_queue_ptr 0
		.amdhsa_user_sgpr_kernarg_segment_ptr 1
		.amdhsa_user_sgpr_dispatch_id 0
		.amdhsa_user_sgpr_flat_scratch_init 0
		.amdhsa_user_sgpr_private_segment_size 0
		.amdhsa_uses_dynamic_stack 0
		.amdhsa_system_sgpr_private_segment_wavefront_offset 0
		.amdhsa_system_sgpr_workgroup_id_x 1
		.amdhsa_system_sgpr_workgroup_id_y 0
		.amdhsa_system_sgpr_workgroup_id_z 0
		.amdhsa_system_sgpr_workgroup_info 0
		.amdhsa_system_vgpr_workitem_id 0
		.amdhsa_next_free_vgpr 3
		.amdhsa_next_free_sgpr 6
		.amdhsa_reserve_vcc 1
		.amdhsa_reserve_flat_scratch 0
		.amdhsa_float_round_mode_32 0
		.amdhsa_float_round_mode_16_64 0
		.amdhsa_float_denorm_mode_32 3
		.amdhsa_float_denorm_mode_16_64 3
		.amdhsa_dx10_clamp 1
		.amdhsa_ieee_mode 1
		.amdhsa_fp16_overflow 0
		.amdhsa_exception_fp_ieee_invalid_op 0
		.amdhsa_exception_fp_denorm_src 0
		.amdhsa_exception_fp_ieee_div_zero 0
		.amdhsa_exception_fp_ieee_overflow 0
		.amdhsa_exception_fp_ieee_underflow 0
		.amdhsa_exception_fp_ieee_inexact 0
		.amdhsa_exception_int_div_zero 0
	.end_amdhsa_kernel
	.section	.text._ZN9rocsolver6v33100L6iota_nIdEEvPT_jS2_,"axG",@progbits,_ZN9rocsolver6v33100L6iota_nIdEEvPT_jS2_,comdat
.Lfunc_end16:
	.size	_ZN9rocsolver6v33100L6iota_nIdEEvPT_jS2_, .Lfunc_end16-_ZN9rocsolver6v33100L6iota_nIdEEvPT_jS2_
                                        ; -- End function
	.set _ZN9rocsolver6v33100L6iota_nIdEEvPT_jS2_.num_vgpr, 3
	.set _ZN9rocsolver6v33100L6iota_nIdEEvPT_jS2_.num_agpr, 0
	.set _ZN9rocsolver6v33100L6iota_nIdEEvPT_jS2_.numbered_sgpr, 6
	.set _ZN9rocsolver6v33100L6iota_nIdEEvPT_jS2_.num_named_barrier, 0
	.set _ZN9rocsolver6v33100L6iota_nIdEEvPT_jS2_.private_seg_size, 0
	.set _ZN9rocsolver6v33100L6iota_nIdEEvPT_jS2_.uses_vcc, 1
	.set _ZN9rocsolver6v33100L6iota_nIdEEvPT_jS2_.uses_flat_scratch, 0
	.set _ZN9rocsolver6v33100L6iota_nIdEEvPT_jS2_.has_dyn_sized_stack, 0
	.set _ZN9rocsolver6v33100L6iota_nIdEEvPT_jS2_.has_recursion, 0
	.set _ZN9rocsolver6v33100L6iota_nIdEEvPT_jS2_.has_indirect_call, 0
	.section	.AMDGPU.csdata,"",@progbits
; Kernel info:
; codeLenInByte = 76
; TotalNumSgprs: 10
; NumVgprs: 3
; ScratchSize: 0
; MemoryBound: 0
; FloatMode: 240
; IeeeMode: 1
; LDSByteSize: 0 bytes/workgroup (compile time only)
; SGPRBlocks: 1
; VGPRBlocks: 0
; NumSGPRsForWavesPerEU: 10
; NumVGPRsForWavesPerEU: 3
; Occupancy: 10
; WaveLimiterHint : 0
; COMPUTE_PGM_RSRC2:SCRATCH_EN: 0
; COMPUTE_PGM_RSRC2:USER_SGPR: 6
; COMPUTE_PGM_RSRC2:TRAP_HANDLER: 0
; COMPUTE_PGM_RSRC2:TGID_X_EN: 1
; COMPUTE_PGM_RSRC2:TGID_Y_EN: 0
; COMPUTE_PGM_RSRC2:TGID_Z_EN: 0
; COMPUTE_PGM_RSRC2:TIDIG_COMP_CNT: 0
	.section	.text._ZN9rocsolver6v33100L18geqr2_kernel_smallILi256EdidPKPdEEvT1_S5_T3_lS5_lPT2_lPT0_l,"axG",@progbits,_ZN9rocsolver6v33100L18geqr2_kernel_smallILi256EdidPKPdEEvT1_S5_T3_lS5_lPT2_lPT0_l,comdat
	.globl	_ZN9rocsolver6v33100L18geqr2_kernel_smallILi256EdidPKPdEEvT1_S5_T3_lS5_lPT2_lPT0_l ; -- Begin function _ZN9rocsolver6v33100L18geqr2_kernel_smallILi256EdidPKPdEEvT1_S5_T3_lS5_lPT2_lPT0_l
	.p2align	8
	.type	_ZN9rocsolver6v33100L18geqr2_kernel_smallILi256EdidPKPdEEvT1_S5_T3_lS5_lPT2_lPT0_l,@function
_ZN9rocsolver6v33100L18geqr2_kernel_smallILi256EdidPKPdEEvT1_S5_T3_lS5_lPT2_lPT0_l: ; @_ZN9rocsolver6v33100L18geqr2_kernel_smallILi256EdidPKPdEEvT1_S5_T3_lS5_lPT2_lPT0_l
; %bb.0:
	s_load_dwordx4 s[0:3], s[4:5], 0x8
	s_mov_b32 s6, s7
	s_ashr_i32 s7, s7, 31
	s_lshl_b64 s[8:9], s[6:7], 3
	v_and_b32_e32 v1, 0x7f, v0
	s_waitcnt lgkmcnt(0)
	s_add_u32 s0, s0, s8
	s_addc_u32 s1, s1, s9
	s_load_dwordx2 s[8:9], s[0:1], 0x0
	s_load_dwordx2 s[16:17], s[4:5], 0x0
	s_load_dword s28, s[4:5], 0x18
	s_lshl_b64 s[0:1], s[2:3], 3
	v_lshrrev_b32_e32 v9, 7, v0
	s_waitcnt lgkmcnt(0)
	s_add_u32 s26, s8, s0
	s_addc_u32 s27, s9, s1
	v_cmp_gt_i32_e64 s[0:1], s16, v1
	v_lshlrev_b32_e32 v10, 3, v1
	s_and_saveexec_b64 s[8:9], s[0:1]
	s_cbranch_execz .LBB17_6
; %bb.1:
	v_lshrrev_b32_e32 v5, 7, v0
	v_mul_lo_u32 v2, s16, v5
	s_lshl_b32 s18, s16, 4
	v_cmp_gt_i32_e32 vcc, s17, v5
	s_lshl_b32 s19, s28, 1
	v_lshlrev_b32_e32 v2, 3, v2
	v_add3_u32 v6, v2, v10, 0
	v_mad_u64_u32 v[2:3], s[2:3], s28, v5, v[1:2]
	s_mov_b64 s[10:11], 0
	v_mov_b32_e32 v7, v1
	s_branch .LBB17_3
.LBB17_2:                               ;   in Loop: Header=BB17_3 Depth=1
	s_or_b64 exec, exec, s[12:13]
	v_add_u32_e32 v7, 0x80, v7
	v_cmp_le_i32_e64 s[2:3], s16, v7
	v_add_u32_e32 v6, 0x400, v6
	s_or_b64 s[10:11], s[2:3], s[10:11]
	v_add_u32_e32 v2, 0x80, v2
	s_andn2_b64 exec, exec, s[10:11]
	s_cbranch_execz .LBB17_6
.LBB17_3:                               ; =>This Loop Header: Depth=1
                                        ;     Child Loop BB17_5 Depth 2
	s_and_saveexec_b64 s[12:13], vcc
	s_cbranch_execz .LBB17_2
; %bb.4:                                ;   in Loop: Header=BB17_3 Depth=1
	s_mov_b64 s[14:15], 0
	v_mov_b32_e32 v3, v2
	v_mov_b32_e32 v8, v6
	;; [unrolled: 1-line block ×3, first 2 shown]
.LBB17_5:                               ;   Parent Loop BB17_3 Depth=1
                                        ; =>  This Inner Loop Header: Depth=2
	v_ashrrev_i32_e32 v4, 31, v3
	v_lshlrev_b64 v[12:13], 3, v[3:4]
	v_mov_b32_e32 v14, s27
	v_add_co_u32_e64 v12, s[2:3], s26, v12
	v_addc_co_u32_e64 v13, s[2:3], v14, v13, s[2:3]
	flat_load_dwordx2 v[12:13], v[12:13]
	v_add_u32_e32 v11, 2, v11
	v_cmp_le_i32_e64 s[2:3], s17, v11
	v_add_u32_e32 v3, s19, v3
	s_or_b64 s[14:15], s[2:3], s[14:15]
	s_waitcnt vmcnt(0) lgkmcnt(0)
	ds_write_b64 v8, v[12:13]
	v_add_u32_e32 v8, s18, v8
	s_andn2_b64 exec, exec, s[14:15]
	s_cbranch_execnz .LBB17_5
	s_branch .LBB17_2
.LBB17_6:
	s_or_b64 exec, exec, s[8:9]
	s_min_i32 s29, s17, s16
	s_cmp_lt_i32 s29, 1
	s_waitcnt lgkmcnt(0)
	s_barrier
	s_cbranch_scc1 .LBB17_43
; %bb.7:
	s_load_dwordx8 s[8:15], s[4:5], 0x28
	v_mbcnt_lo_u32_b32 v2, -1, 0
	v_mbcnt_hi_u32_b32 v2, -1, v2
	v_and_b32_e32 v3, 63, v2
	v_cmp_ne_u32_e32 vcc, 63, v3
	s_waitcnt lgkmcnt(0)
	s_mul_i32 s3, s10, s7
	s_mul_hi_u32 s4, s10, s6
	s_mul_i32 s5, s11, s6
	s_add_i32 s3, s4, s3
	s_mul_i32 s2, s10, s6
	s_add_i32 s3, s3, s5
	s_lshl_b64 s[2:3], s[2:3], 3
	s_mul_i32 s7, s14, s7
	s_add_u32 s30, s8, s2
	s_mul_hi_u32 s2, s14, s6
	s_addc_u32 s31, s9, s3
	s_add_i32 s2, s2, s7
	s_mul_i32 s3, s15, s6
	s_add_i32 s3, s2, s3
	s_mul_i32 s2, s14, s6
	v_addc_co_u32_e32 v4, vcc, 0, v2, vcc
	s_lshl_b64 s[2:3], s[2:3], 3
	v_cmp_gt_u32_e32 vcc, 62, v3
	s_add_u32 s33, s12, s2
	s_mul_i32 s2, s17, s16
	v_lshlrev_b32_e32 v11, 2, v4
	v_cndmask_b32_e64 v4, 0, 2, vcc
	v_cmp_gt_u32_e32 vcc, 60, v3
	s_addc_u32 s34, s13, s3
	s_lshl_b32 s2, s2, 3
	v_add_lshl_u32 v12, v4, v2, 2
	v_cndmask_b32_e64 v4, 0, 4, vcc
	v_cmp_gt_u32_e32 vcc, 56, v3
	s_add_i32 s35, s2, 0
	s_lshl_b32 s2, s17, 3
	v_add_lshl_u32 v13, v4, v2, 2
	v_cndmask_b32_e64 v4, 0, 8, vcc
	s_add_i32 s36, s35, s2
	v_add_lshl_u32 v14, v4, v2, 2
	v_cmp_gt_u32_e32 vcc, 48, v3
	v_mul_lo_u32 v4, s16, v0
	v_cndmask_b32_e64 v3, 0, 16, vcc
	s_cmp_eq_u64 s[8:9], 0
	v_add_lshl_u32 v15, v3, v2, 2
	v_mov_b32_e32 v3, 0x80
	s_cselect_b64 s[12:13], -1, 0
	s_cmp_lg_u64 s[8:9], 0
	v_lshl_or_b32 v16, v2, 2, v3
	v_and_b32_e32 v2, 63, v0
	s_cselect_b64 s[14:15], -1, 0
	s_lshl_b32 s37, s16, 3
	s_mov_b32 s11, 0
	v_cmp_eq_u32_e64 s[2:3], 0, v2
	v_lshrrev_b32_e32 v2, 3, v0
	v_lshlrev_b32_e32 v3, 3, v0
	v_add_u32_e32 v4, s16, v4
	s_add_i32 s6, s37, 0
	s_mov_b32 s18, 0
	v_cmp_eq_u32_e64 s[4:5], 0, v0
	v_add3_u32 v17, v3, 0, 8
	s_add_i32 s38, s37, 8
	v_lshl_add_u32 v18, v4, 3, 0
	s_lshl_b32 s39, s16, 11
	v_add_u32_e32 v19, s6, v3
	v_add_u32_e32 v20, s36, v2
	s_brev_b32 s19, 8
	v_mov_b32_e32 v2, 0
	v_mov_b32_e32 v21, 0xffffff80
	s_mov_b32 s40, 0
	s_mov_b32 s41, s17
	;; [unrolled: 1-line block ×4, first 2 shown]
	s_branch .LBB17_9
.LBB17_8:                               ;   in Loop: Header=BB17_9 Depth=1
	s_or_b64 exec, exec, s[6:7]
	s_add_i32 s41, s41, -1
	s_add_i32 s10, s10, 1
	s_add_i32 s42, s42, -1
	s_add_i32 s40, s40, s38
	v_add_u32_e32 v17, s38, v17
	v_add_u32_e32 v18, s38, v18
	s_cmp_eq_u32 s10, s29
	v_add_u32_e32 v19, s38, v19
	s_waitcnt lgkmcnt(0)
	s_barrier
	s_cbranch_scc1 .LBB17_43
.LBB17_9:                               ; =>This Loop Header: Depth=1
                                        ;     Child Loop BB17_11 Depth 2
                                        ;     Child Loop BB17_30 Depth 2
	;; [unrolled: 1-line block ×3, first 2 shown]
                                        ;       Child Loop BB17_36 Depth 3
                                        ;     Child Loop BB17_40 Depth 2
                                        ;       Child Loop BB17_42 Depth 3
	s_sub_i32 s43, s16, s10
	s_add_i32 s45, s43, -1
	v_mov_b32_e32 v3, 0
	v_mov_b32_e32 v4, 0
	v_cmp_gt_i32_e64 s[6:7], s45, v0
	s_and_saveexec_b64 s[8:9], s[6:7]
	s_cbranch_execz .LBB17_13
; %bb.10:                               ;   in Loop: Header=BB17_9 Depth=1
	v_mov_b32_e32 v3, 0
	v_mov_b32_e32 v4, 0
	s_mov_b64 s[20:21], 0
	v_mov_b32_e32 v5, v17
	v_mov_b32_e32 v6, v0
.LBB17_11:                              ;   Parent Loop BB17_9 Depth=1
                                        ; =>  This Inner Loop Header: Depth=2
	ds_read_b64 v[7:8], v5
	v_add_u32_e32 v6, 0x100, v6
	v_cmp_le_i32_e32 vcc, s45, v6
	s_or_b64 s[20:21], vcc, s[20:21]
	v_add_u32_e32 v5, 0x800, v5
	s_waitcnt lgkmcnt(0)
	v_fma_f64 v[3:4], v[7:8], v[7:8], v[3:4]
	s_andn2_b64 exec, exec, s[20:21]
	s_cbranch_execnz .LBB17_11
; %bb.12:                               ;   in Loop: Header=BB17_9 Depth=1
	s_or_b64 exec, exec, s[20:21]
.LBB17_13:                              ;   in Loop: Header=BB17_9 Depth=1
	s_or_b64 exec, exec, s[8:9]
	ds_bpermute_b32 v5, v11, v3
	ds_bpermute_b32 v6, v11, v4
	s_waitcnt lgkmcnt(0)
	v_add_f64 v[3:4], v[3:4], v[5:6]
	ds_bpermute_b32 v5, v12, v3
	ds_bpermute_b32 v6, v12, v4
	s_waitcnt lgkmcnt(0)
	v_add_f64 v[3:4], v[3:4], v[5:6]
	;; [unrolled: 4-line block ×6, first 2 shown]
	s_and_saveexec_b64 s[8:9], s[2:3]
; %bb.14:                               ;   in Loop: Header=BB17_9 Depth=1
	ds_write_b64 v20, v[3:4] offset:8
; %bb.15:                               ;   in Loop: Header=BB17_9 Depth=1
	s_or_b64 exec, exec, s[8:9]
	s_lshl_b32 s8, s10, 3
	s_add_i32 s44, s8, 0
	s_mul_i32 s8, s10, s16
	s_lshl_b32 s8, s8, 3
	s_add_i32 s44, s44, s8
	s_waitcnt lgkmcnt(0)
	s_barrier
	s_and_saveexec_b64 s[20:21], s[4:5]
	s_cbranch_execz .LBB17_28
; %bb.16:                               ;   in Loop: Header=BB17_9 Depth=1
	v_mov_b32_e32 v22, s36
	ds_read2_b64 v[5:8], v22 offset0:2 offset1:3
	ds_read_b64 v[22:23], v22 offset:32
	s_mov_b64 s[8:9], 0
	s_mov_b64 s[22:23], 0
	s_waitcnt lgkmcnt(1)
	v_add_f64 v[3:4], v[3:4], v[5:6]
	v_add_f64 v[3:4], v[3:4], v[7:8]
	s_waitcnt lgkmcnt(0)
	v_add_f64 v[7:8], v[3:4], v[22:23]
                                        ; implicit-def: $vgpr3_vgpr4
	v_cmp_nlt_f64_e32 vcc, 0, v[7:8]
	s_and_saveexec_b64 s[24:25], vcc
	s_xor_b64 s[24:25], exec, s[24:25]
	s_cbranch_execz .LBB17_21
; %bb.17:                               ;   in Loop: Header=BB17_9 Depth=1
	v_mov_b32_e32 v3, v2
	v_mov_b32_e32 v4, s36
	s_and_b64 vcc, exec, s[14:15]
	ds_write_b64 v4, v[2:3]
	s_cbranch_vccz .LBB17_19
; %bb.18:                               ;   in Loop: Header=BB17_9 Depth=1
	v_mov_b32_e32 v3, s44
	ds_read_b64 v[3:4], v3
	s_mov_b64 s[22:23], -1
	s_branch .LBB17_20
.LBB17_19:                              ;   in Loop: Header=BB17_9 Depth=1
                                        ; implicit-def: $vgpr3_vgpr4
.LBB17_20:                              ;   in Loop: Header=BB17_9 Depth=1
	s_and_b64 s[22:23], s[22:23], exec
                                        ; implicit-def: $vgpr7_vgpr8
.LBB17_21:                              ;   in Loop: Header=BB17_9 Depth=1
	s_or_saveexec_b64 s[24:25], s[24:25]
	v_mov_b32_e32 v5, 0
	v_mov_b32_e32 v6, 0x3ff00000
	s_xor_b64 exec, exec, s[24:25]
	s_cbranch_execz .LBB17_23
; %bb.22:                               ;   in Loop: Header=BB17_9 Depth=1
	s_waitcnt lgkmcnt(0)
	v_mov_b32_e32 v3, s44
	ds_read_b64 v[5:6], v3
	s_andn2_b64 s[22:23], s[22:23], exec
	s_and_b64 s[46:47], s[14:15], exec
	s_or_b64 s[22:23], s[22:23], s[46:47]
	s_waitcnt lgkmcnt(0)
	v_fma_f64 v[3:4], v[5:6], v[5:6], v[7:8]
	v_mov_b32_e32 v7, 0x100
	v_cmp_gt_f64_e32 vcc, s[18:19], v[3:4]
	v_cndmask_b32_e32 v7, 0, v7, vcc
	v_ldexp_f64 v[3:4], v[3:4], v7
	v_rsq_f64_e32 v[7:8], v[3:4]
	v_mul_f64 v[22:23], v[3:4], v[7:8]
	v_mul_f64 v[7:8], v[7:8], 0.5
	v_fma_f64 v[24:25], -v[7:8], v[22:23], 0.5
	v_fma_f64 v[22:23], v[22:23], v[24:25], v[22:23]
	v_fma_f64 v[7:8], v[7:8], v[24:25], v[7:8]
	v_fma_f64 v[24:25], -v[22:23], v[22:23], v[3:4]
	v_fma_f64 v[22:23], v[24:25], v[7:8], v[22:23]
	v_fma_f64 v[24:25], -v[22:23], v[22:23], v[3:4]
	v_fma_f64 v[7:8], v[24:25], v[7:8], v[22:23]
	v_mov_b32_e32 v22, 0x260
	v_cndmask_b32_e32 v23, 0, v21, vcc
	v_cmp_class_f64_e32 vcc, v[3:4], v22
	v_ldexp_f64 v[7:8], v[7:8], v23
	v_cndmask_b32_e32 v3, v7, v3, vcc
	v_cndmask_b32_e32 v4, v8, v4, vcc
	v_cmp_le_f64_e32 vcc, 0, v[5:6]
	v_xor_b32_e32 v7, 0x80000000, v4
	v_cndmask_b32_e32 v4, v4, v7, vcc
	v_add_f64 v[7:8], v[5:6], -v[3:4]
	v_add_f64 v[5:6], v[3:4], -v[5:6]
	v_div_scale_f64 v[22:23], s[8:9], v[7:8], v[7:8], 1.0
	v_div_scale_f64 v[24:25], s[8:9], v[3:4], v[3:4], v[5:6]
	v_div_scale_f64 v[34:35], s[8:9], v[5:6], v[3:4], v[5:6]
	v_rcp_f64_e32 v[26:27], v[22:23]
	v_rcp_f64_e32 v[28:29], v[24:25]
	v_fma_f64 v[30:31], -v[22:23], v[26:27], 1.0
	v_fma_f64 v[32:33], -v[24:25], v[28:29], 1.0
	v_fma_f64 v[26:27], v[26:27], v[30:31], v[26:27]
	v_div_scale_f64 v[30:31], vcc, 1.0, v[7:8], 1.0
	v_fma_f64 v[28:29], v[28:29], v[32:33], v[28:29]
	v_fma_f64 v[32:33], -v[22:23], v[26:27], 1.0
	v_fma_f64 v[36:37], -v[24:25], v[28:29], 1.0
	v_fma_f64 v[26:27], v[26:27], v[32:33], v[26:27]
	v_fma_f64 v[28:29], v[28:29], v[36:37], v[28:29]
	v_mul_f64 v[32:33], v[30:31], v[26:27]
	v_mul_f64 v[36:37], v[34:35], v[28:29]
	v_fma_f64 v[22:23], -v[22:23], v[32:33], v[30:31]
	v_fma_f64 v[24:25], -v[24:25], v[36:37], v[34:35]
	v_div_fmas_f64 v[22:23], v[22:23], v[26:27], v[32:33]
	s_mov_b64 vcc, s[8:9]
	s_and_b64 s[8:9], s[12:13], exec
	v_div_fmas_f64 v[24:25], v[24:25], v[28:29], v[36:37]
	v_div_fixup_f64 v[24:25], v[24:25], v[3:4], v[5:6]
	v_div_fixup_f64 v[5:6], v[22:23], v[7:8], 1.0
	v_mov_b32_e32 v7, s36
	ds_write_b64 v7, v[24:25]
.LBB17_23:                              ;   in Loop: Header=BB17_9 Depth=1
	s_or_b64 exec, exec, s[24:25]
	s_and_saveexec_b64 s[24:25], s[22:23]
	s_cbranch_execz .LBB17_25
; %bb.24:                               ;   in Loop: Header=BB17_9 Depth=1
	s_lshl_b64 s[22:23], s[10:11], 3
	s_add_u32 s22, s30, s22
	s_addc_u32 s23, s31, s23
	s_waitcnt lgkmcnt(0)
	global_store_dwordx2 v2, v[3:4], s[22:23]
	v_mov_b32_e32 v3, 0
	v_mov_b32_e32 v4, 0x3ff00000
	s_or_b64 s[8:9], s[8:9], exec
.LBB17_25:                              ;   in Loop: Header=BB17_9 Depth=1
	s_or_b64 exec, exec, s[24:25]
	v_mov_b32_e32 v7, 0
	v_mov_b32_e32 v8, 0
	s_and_saveexec_b64 s[22:23], s[8:9]
	s_cbranch_execz .LBB17_27
; %bb.26:                               ;   in Loop: Header=BB17_9 Depth=1
	v_mov_b32_e32 v7, s44
	s_waitcnt lgkmcnt(0)
	ds_write_b64 v7, v[3:4]
	v_mov_b32_e32 v3, s36
	ds_read_b64 v[7:8], v3
.LBB17_27:                              ;   in Loop: Header=BB17_9 Depth=1
	s_or_b64 exec, exec, s[22:23]
	s_lshl_b64 s[8:9], s[10:11], 3
	s_add_u32 s8, s33, s8
	s_addc_u32 s9, s34, s9
	s_waitcnt lgkmcnt(0)
	v_mov_b32_e32 v3, s36
	global_store_dwordx2 v2, v[7:8], s[8:9]
	ds_write_b64 v3, v[5:6] offset:8
.LBB17_28:                              ;   in Loop: Header=BB17_9 Depth=1
	s_or_b64 exec, exec, s[20:21]
	s_waitcnt vmcnt(0) lgkmcnt(0)
	s_barrier
	s_and_saveexec_b64 s[8:9], s[6:7]
	s_cbranch_execz .LBB17_31
; %bb.29:                               ;   in Loop: Header=BB17_9 Depth=1
	s_mov_b32 s20, 0
	s_mov_b64 s[6:7], 0
	v_mov_b32_e32 v3, v0
.LBB17_30:                              ;   Parent Loop BB17_9 Depth=1
                                        ; =>  This Inner Loop Header: Depth=2
	v_mov_b32_e32 v4, s36
	v_add_u32_e32 v8, s20, v17
	ds_read_b64 v[4:5], v4 offset:8
	ds_read_b64 v[6:7], v8
	v_add_u32_e32 v3, 0x100, v3
	s_addk_i32 s20, 0x800
	v_cmp_le_i32_e32 vcc, s45, v3
	s_or_b64 s[6:7], vcc, s[6:7]
	s_waitcnt lgkmcnt(0)
	v_mul_f64 v[4:5], v[4:5], v[6:7]
	ds_write_b64 v8, v[4:5]
	s_andn2_b64 exec, exec, s[6:7]
	s_cbranch_execnz .LBB17_30
.LBB17_31:                              ;   in Loop: Header=BB17_9 Depth=1
	s_or_b64 exec, exec, s[8:9]
	s_not_b32 s6, s10
	s_add_i32 s22, s17, s6
	v_cmp_gt_i32_e32 vcc, s22, v0
	s_waitcnt lgkmcnt(0)
	s_barrier
	s_and_saveexec_b64 s[6:7], vcc
	s_cbranch_execz .LBB17_37
; %bb.32:                               ;   in Loop: Header=BB17_9 Depth=1
	s_cmp_gt_i32 s43, 0
	s_mov_b64 s[8:9], 0
	s_cselect_b64 s[20:21], -1, 0
	v_mov_b32_e32 v5, v18
	v_mov_b32_e32 v6, v0
	s_branch .LBB17_34
.LBB17_33:                              ;   in Loop: Header=BB17_34 Depth=2
	v_mov_b32_e32 v7, s36
	ds_read_b64 v[7:8], v7
	v_add_u32_e32 v5, s39, v5
	s_waitcnt lgkmcnt(0)
	v_mul_f64 v[3:4], v[3:4], v[7:8]
	v_lshl_add_u32 v7, v6, 3, s35
	v_add_u32_e32 v6, 0x100, v6
	v_cmp_le_i32_e32 vcc, s22, v6
	s_or_b64 s[8:9], vcc, s[8:9]
	ds_write_b64 v7, v[3:4]
	s_andn2_b64 exec, exec, s[8:9]
	s_cbranch_execz .LBB17_37
.LBB17_34:                              ;   Parent Loop BB17_9 Depth=1
                                        ; =>  This Loop Header: Depth=2
                                        ;       Child Loop BB17_36 Depth 3
	v_mov_b32_e32 v3, 0
	v_mov_b32_e32 v4, 0
	s_andn2_b64 vcc, exec, s[20:21]
	s_cbranch_vccnz .LBB17_33
; %bb.35:                               ;   in Loop: Header=BB17_34 Depth=2
	s_mov_b32 s23, s40
	s_mov_b32 s24, s42
	v_mov_b32_e32 v7, v5
.LBB17_36:                              ;   Parent Loop BB17_9 Depth=1
                                        ;     Parent Loop BB17_34 Depth=2
                                        ; =>    This Inner Loop Header: Depth=3
	v_mov_b32_e32 v8, s23
	ds_read_b64 v[22:23], v7
	ds_read_b64 v[24:25], v8
	s_add_i32 s24, s24, -1
	s_add_i32 s23, s23, 8
	s_cmp_eq_u32 s24, 0
	v_add_u32_e32 v7, 8, v7
	s_waitcnt lgkmcnt(0)
	v_fma_f64 v[3:4], v[22:23], v[24:25], v[3:4]
	s_cbranch_scc0 .LBB17_36
	s_branch .LBB17_33
.LBB17_37:                              ;   in Loop: Header=BB17_9 Depth=1
	s_or_b64 exec, exec, s[6:7]
	v_cmp_gt_i32_e32 vcc, s43, v0
	s_waitcnt lgkmcnt(0)
	s_barrier
	s_and_saveexec_b64 s[6:7], vcc
	s_cbranch_execz .LBB17_8
; %bb.38:                               ;   in Loop: Header=BB17_9 Depth=1
	s_cmp_gt_i32 s22, 0
	s_mov_b64 s[8:9], 0
	s_cselect_b64 s[20:21], -1, 0
	v_mov_b32_e32 v3, v19
	v_mov_b32_e32 v4, v0
	s_branch .LBB17_40
.LBB17_39:                              ;   in Loop: Header=BB17_40 Depth=2
	v_add_u32_e32 v4, 0x100, v4
	v_cmp_le_i32_e32 vcc, s43, v4
	s_or_b64 s[8:9], vcc, s[8:9]
	v_add_u32_e32 v3, 0x800, v3
	s_andn2_b64 exec, exec, s[8:9]
	s_cbranch_execz .LBB17_8
.LBB17_40:                              ;   Parent Loop BB17_9 Depth=1
                                        ; =>  This Loop Header: Depth=2
                                        ;       Child Loop BB17_42 Depth 3
	s_andn2_b64 vcc, exec, s[20:21]
	s_cbranch_vccnz .LBB17_39
; %bb.41:                               ;   in Loop: Header=BB17_40 Depth=2
	v_lshl_add_u32 v5, v4, 3, s44
	s_mov_b32 s22, 1
	s_mov_b32 s23, s35
	v_mov_b32_e32 v6, v3
.LBB17_42:                              ;   Parent Loop BB17_9 Depth=1
                                        ;     Parent Loop BB17_40 Depth=2
                                        ; =>    This Inner Loop Header: Depth=3
	v_mov_b32_e32 v24, s23
	ds_read_b64 v[7:8], v6
	ds_read_b64 v[22:23], v5
	;; [unrolled: 1-line block ×3, first 2 shown]
	s_add_i32 s22, s22, 1
	s_add_i32 s23, s23, 8
	s_cmp_eq_u32 s41, s22
	s_waitcnt lgkmcnt(0)
	v_fma_f64 v[7:8], -v[22:23], v[24:25], v[7:8]
	ds_write_b64 v6, v[7:8]
	v_add_u32_e32 v6, s37, v6
	s_cbranch_scc0 .LBB17_42
	s_branch .LBB17_39
.LBB17_43:
	s_and_saveexec_b64 s[2:3], s[0:1]
	s_cbranch_execz .LBB17_49
; %bb.44:
	v_mul_lo_u32 v0, s16, v9
	v_mad_u64_u32 v[2:3], s[0:1], s28, v9, v[1:2]
	v_cmp_gt_i32_e32 vcc, s17, v9
	v_lshlrev_b32_e32 v0, 3, v0
	s_lshl_b32 s8, s28, 1
	v_add3_u32 v0, v0, v10, 0
	s_lshl_b32 s9, s16, 4
	s_mov_b64 s[2:3], 0
	s_branch .LBB17_46
.LBB17_45:                              ;   in Loop: Header=BB17_46 Depth=1
	s_or_b64 exec, exec, s[4:5]
	v_add_u32_e32 v1, 0x80, v1
	v_cmp_le_i32_e64 s[0:1], s16, v1
	v_add_u32_e32 v2, 0x80, v2
	s_or_b64 s[2:3], s[0:1], s[2:3]
	v_add_u32_e32 v0, 0x400, v0
	s_andn2_b64 exec, exec, s[2:3]
	s_cbranch_execz .LBB17_49
.LBB17_46:                              ; =>This Loop Header: Depth=1
                                        ;     Child Loop BB17_48 Depth 2
	s_and_saveexec_b64 s[4:5], vcc
	s_cbranch_execz .LBB17_45
; %bb.47:                               ;   in Loop: Header=BB17_46 Depth=1
	s_mov_b64 s[6:7], 0
	v_mov_b32_e32 v5, v0
	v_mov_b32_e32 v3, v2
	v_mov_b32_e32 v6, v9
.LBB17_48:                              ;   Parent Loop BB17_46 Depth=1
                                        ; =>  This Inner Loop Header: Depth=2
	ds_read_b64 v[7:8], v5
	v_ashrrev_i32_e32 v4, 31, v3
	v_add_u32_e32 v6, 2, v6
	v_lshlrev_b64 v[10:11], 3, v[3:4]
	v_cmp_le_i32_e64 s[0:1], s17, v6
	v_mov_b32_e32 v12, s27
	s_or_b64 s[6:7], s[0:1], s[6:7]
	v_add_co_u32_e64 v10, s[0:1], s26, v10
	v_add_u32_e32 v5, s9, v5
	v_add_u32_e32 v3, s8, v3
	v_addc_co_u32_e64 v11, s[0:1], v12, v11, s[0:1]
	s_waitcnt lgkmcnt(0)
	flat_store_dwordx2 v[10:11], v[7:8]
	s_andn2_b64 exec, exec, s[6:7]
	s_cbranch_execnz .LBB17_48
	s_branch .LBB17_45
.LBB17_49:
	s_endpgm
	.section	.rodata,"a",@progbits
	.p2align	6, 0x0
	.amdhsa_kernel _ZN9rocsolver6v33100L18geqr2_kernel_smallILi256EdidPKPdEEvT1_S5_T3_lS5_lPT2_lPT0_l
		.amdhsa_group_segment_fixed_size 0
		.amdhsa_private_segment_fixed_size 0
		.amdhsa_kernarg_size 72
		.amdhsa_user_sgpr_count 6
		.amdhsa_user_sgpr_private_segment_buffer 1
		.amdhsa_user_sgpr_dispatch_ptr 0
		.amdhsa_user_sgpr_queue_ptr 0
		.amdhsa_user_sgpr_kernarg_segment_ptr 1
		.amdhsa_user_sgpr_dispatch_id 0
		.amdhsa_user_sgpr_flat_scratch_init 0
		.amdhsa_user_sgpr_private_segment_size 0
		.amdhsa_uses_dynamic_stack 0
		.amdhsa_system_sgpr_private_segment_wavefront_offset 0
		.amdhsa_system_sgpr_workgroup_id_x 1
		.amdhsa_system_sgpr_workgroup_id_y 0
		.amdhsa_system_sgpr_workgroup_id_z 1
		.amdhsa_system_sgpr_workgroup_info 0
		.amdhsa_system_vgpr_workitem_id 0
		.amdhsa_next_free_vgpr 38
		.amdhsa_next_free_sgpr 48
		.amdhsa_reserve_vcc 1
		.amdhsa_reserve_flat_scratch 0
		.amdhsa_float_round_mode_32 0
		.amdhsa_float_round_mode_16_64 0
		.amdhsa_float_denorm_mode_32 3
		.amdhsa_float_denorm_mode_16_64 3
		.amdhsa_dx10_clamp 1
		.amdhsa_ieee_mode 1
		.amdhsa_fp16_overflow 0
		.amdhsa_exception_fp_ieee_invalid_op 0
		.amdhsa_exception_fp_denorm_src 0
		.amdhsa_exception_fp_ieee_div_zero 0
		.amdhsa_exception_fp_ieee_overflow 0
		.amdhsa_exception_fp_ieee_underflow 0
		.amdhsa_exception_fp_ieee_inexact 0
		.amdhsa_exception_int_div_zero 0
	.end_amdhsa_kernel
	.section	.text._ZN9rocsolver6v33100L18geqr2_kernel_smallILi256EdidPKPdEEvT1_S5_T3_lS5_lPT2_lPT0_l,"axG",@progbits,_ZN9rocsolver6v33100L18geqr2_kernel_smallILi256EdidPKPdEEvT1_S5_T3_lS5_lPT2_lPT0_l,comdat
.Lfunc_end17:
	.size	_ZN9rocsolver6v33100L18geqr2_kernel_smallILi256EdidPKPdEEvT1_S5_T3_lS5_lPT2_lPT0_l, .Lfunc_end17-_ZN9rocsolver6v33100L18geqr2_kernel_smallILi256EdidPKPdEEvT1_S5_T3_lS5_lPT2_lPT0_l
                                        ; -- End function
	.set _ZN9rocsolver6v33100L18geqr2_kernel_smallILi256EdidPKPdEEvT1_S5_T3_lS5_lPT2_lPT0_l.num_vgpr, 38
	.set _ZN9rocsolver6v33100L18geqr2_kernel_smallILi256EdidPKPdEEvT1_S5_T3_lS5_lPT2_lPT0_l.num_agpr, 0
	.set _ZN9rocsolver6v33100L18geqr2_kernel_smallILi256EdidPKPdEEvT1_S5_T3_lS5_lPT2_lPT0_l.numbered_sgpr, 48
	.set _ZN9rocsolver6v33100L18geqr2_kernel_smallILi256EdidPKPdEEvT1_S5_T3_lS5_lPT2_lPT0_l.num_named_barrier, 0
	.set _ZN9rocsolver6v33100L18geqr2_kernel_smallILi256EdidPKPdEEvT1_S5_T3_lS5_lPT2_lPT0_l.private_seg_size, 0
	.set _ZN9rocsolver6v33100L18geqr2_kernel_smallILi256EdidPKPdEEvT1_S5_T3_lS5_lPT2_lPT0_l.uses_vcc, 1
	.set _ZN9rocsolver6v33100L18geqr2_kernel_smallILi256EdidPKPdEEvT1_S5_T3_lS5_lPT2_lPT0_l.uses_flat_scratch, 0
	.set _ZN9rocsolver6v33100L18geqr2_kernel_smallILi256EdidPKPdEEvT1_S5_T3_lS5_lPT2_lPT0_l.has_dyn_sized_stack, 0
	.set _ZN9rocsolver6v33100L18geqr2_kernel_smallILi256EdidPKPdEEvT1_S5_T3_lS5_lPT2_lPT0_l.has_recursion, 0
	.set _ZN9rocsolver6v33100L18geqr2_kernel_smallILi256EdidPKPdEEvT1_S5_T3_lS5_lPT2_lPT0_l.has_indirect_call, 0
	.section	.AMDGPU.csdata,"",@progbits
; Kernel info:
; codeLenInByte = 2488
; TotalNumSgprs: 52
; NumVgprs: 38
; ScratchSize: 0
; MemoryBound: 0
; FloatMode: 240
; IeeeMode: 1
; LDSByteSize: 0 bytes/workgroup (compile time only)
; SGPRBlocks: 6
; VGPRBlocks: 9
; NumSGPRsForWavesPerEU: 52
; NumVGPRsForWavesPerEU: 38
; Occupancy: 6
; WaveLimiterHint : 1
; COMPUTE_PGM_RSRC2:SCRATCH_EN: 0
; COMPUTE_PGM_RSRC2:USER_SGPR: 6
; COMPUTE_PGM_RSRC2:TRAP_HANDLER: 0
; COMPUTE_PGM_RSRC2:TGID_X_EN: 1
; COMPUTE_PGM_RSRC2:TGID_Y_EN: 0
; COMPUTE_PGM_RSRC2:TGID_Z_EN: 1
; COMPUTE_PGM_RSRC2:TIDIG_COMP_CNT: 0
	.section	.text._ZN9rocsolver6v33100L16reset_batch_infoIdiiPdEEvT2_lT0_T1_,"axG",@progbits,_ZN9rocsolver6v33100L16reset_batch_infoIdiiPdEEvT2_lT0_T1_,comdat
	.globl	_ZN9rocsolver6v33100L16reset_batch_infoIdiiPdEEvT2_lT0_T1_ ; -- Begin function _ZN9rocsolver6v33100L16reset_batch_infoIdiiPdEEvT2_lT0_T1_
	.p2align	8
	.type	_ZN9rocsolver6v33100L16reset_batch_infoIdiiPdEEvT2_lT0_T1_,@function
_ZN9rocsolver6v33100L16reset_batch_infoIdiiPdEEvT2_lT0_T1_: ; @_ZN9rocsolver6v33100L16reset_batch_infoIdiiPdEEvT2_lT0_T1_
; %bb.0:
	s_load_dword s2, s[4:5], 0x24
	s_load_dwordx2 s[0:1], s[4:5], 0x10
	s_waitcnt lgkmcnt(0)
	s_and_b32 s2, s2, 0xffff
	s_mul_i32 s6, s6, s2
	v_add_u32_e32 v0, s6, v0
	v_cmp_gt_i32_e32 vcc, s0, v0
	s_and_saveexec_b64 s[2:3], vcc
	s_cbranch_execz .LBB18_2
; %bb.1:
	s_load_dwordx4 s[8:11], s[4:5], 0x0
	s_ashr_i32 s0, s7, 31
	v_ashrrev_i32_e32 v1, 31, v0
	v_lshlrev_b64 v[0:1], 3, v[0:1]
	v_cvt_f64_i32_e32 v[2:3], s1
	s_waitcnt lgkmcnt(0)
	s_mul_hi_u32 s3, s10, s7
	s_mul_i32 s0, s10, s0
	s_mul_i32 s4, s11, s7
	s_add_i32 s0, s3, s0
	s_mul_i32 s2, s10, s7
	s_add_i32 s3, s0, s4
	s_lshl_b64 s[2:3], s[2:3], 3
	s_add_u32 s0, s8, s2
	s_addc_u32 s2, s9, s3
	v_mov_b32_e32 v4, s2
	v_add_co_u32_e32 v0, vcc, s0, v0
	v_addc_co_u32_e32 v1, vcc, v4, v1, vcc
	global_store_dwordx2 v[0:1], v[2:3], off
.LBB18_2:
	s_endpgm
	.section	.rodata,"a",@progbits
	.p2align	6, 0x0
	.amdhsa_kernel _ZN9rocsolver6v33100L16reset_batch_infoIdiiPdEEvT2_lT0_T1_
		.amdhsa_group_segment_fixed_size 0
		.amdhsa_private_segment_fixed_size 0
		.amdhsa_kernarg_size 280
		.amdhsa_user_sgpr_count 6
		.amdhsa_user_sgpr_private_segment_buffer 1
		.amdhsa_user_sgpr_dispatch_ptr 0
		.amdhsa_user_sgpr_queue_ptr 0
		.amdhsa_user_sgpr_kernarg_segment_ptr 1
		.amdhsa_user_sgpr_dispatch_id 0
		.amdhsa_user_sgpr_flat_scratch_init 0
		.amdhsa_user_sgpr_private_segment_size 0
		.amdhsa_uses_dynamic_stack 0
		.amdhsa_system_sgpr_private_segment_wavefront_offset 0
		.amdhsa_system_sgpr_workgroup_id_x 1
		.amdhsa_system_sgpr_workgroup_id_y 1
		.amdhsa_system_sgpr_workgroup_id_z 0
		.amdhsa_system_sgpr_workgroup_info 0
		.amdhsa_system_vgpr_workitem_id 0
		.amdhsa_next_free_vgpr 5
		.amdhsa_next_free_sgpr 12
		.amdhsa_reserve_vcc 1
		.amdhsa_reserve_flat_scratch 0
		.amdhsa_float_round_mode_32 0
		.amdhsa_float_round_mode_16_64 0
		.amdhsa_float_denorm_mode_32 3
		.amdhsa_float_denorm_mode_16_64 3
		.amdhsa_dx10_clamp 1
		.amdhsa_ieee_mode 1
		.amdhsa_fp16_overflow 0
		.amdhsa_exception_fp_ieee_invalid_op 0
		.amdhsa_exception_fp_denorm_src 0
		.amdhsa_exception_fp_ieee_div_zero 0
		.amdhsa_exception_fp_ieee_overflow 0
		.amdhsa_exception_fp_ieee_underflow 0
		.amdhsa_exception_fp_ieee_inexact 0
		.amdhsa_exception_int_div_zero 0
	.end_amdhsa_kernel
	.section	.text._ZN9rocsolver6v33100L16reset_batch_infoIdiiPdEEvT2_lT0_T1_,"axG",@progbits,_ZN9rocsolver6v33100L16reset_batch_infoIdiiPdEEvT2_lT0_T1_,comdat
.Lfunc_end18:
	.size	_ZN9rocsolver6v33100L16reset_batch_infoIdiiPdEEvT2_lT0_T1_, .Lfunc_end18-_ZN9rocsolver6v33100L16reset_batch_infoIdiiPdEEvT2_lT0_T1_
                                        ; -- End function
	.set _ZN9rocsolver6v33100L16reset_batch_infoIdiiPdEEvT2_lT0_T1_.num_vgpr, 5
	.set _ZN9rocsolver6v33100L16reset_batch_infoIdiiPdEEvT2_lT0_T1_.num_agpr, 0
	.set _ZN9rocsolver6v33100L16reset_batch_infoIdiiPdEEvT2_lT0_T1_.numbered_sgpr, 12
	.set _ZN9rocsolver6v33100L16reset_batch_infoIdiiPdEEvT2_lT0_T1_.num_named_barrier, 0
	.set _ZN9rocsolver6v33100L16reset_batch_infoIdiiPdEEvT2_lT0_T1_.private_seg_size, 0
	.set _ZN9rocsolver6v33100L16reset_batch_infoIdiiPdEEvT2_lT0_T1_.uses_vcc, 1
	.set _ZN9rocsolver6v33100L16reset_batch_infoIdiiPdEEvT2_lT0_T1_.uses_flat_scratch, 0
	.set _ZN9rocsolver6v33100L16reset_batch_infoIdiiPdEEvT2_lT0_T1_.has_dyn_sized_stack, 0
	.set _ZN9rocsolver6v33100L16reset_batch_infoIdiiPdEEvT2_lT0_T1_.has_recursion, 0
	.set _ZN9rocsolver6v33100L16reset_batch_infoIdiiPdEEvT2_lT0_T1_.has_indirect_call, 0
	.section	.AMDGPU.csdata,"",@progbits
; Kernel info:
; codeLenInByte = 140
; TotalNumSgprs: 16
; NumVgprs: 5
; ScratchSize: 0
; MemoryBound: 0
; FloatMode: 240
; IeeeMode: 1
; LDSByteSize: 0 bytes/workgroup (compile time only)
; SGPRBlocks: 1
; VGPRBlocks: 1
; NumSGPRsForWavesPerEU: 16
; NumVGPRsForWavesPerEU: 5
; Occupancy: 10
; WaveLimiterHint : 0
; COMPUTE_PGM_RSRC2:SCRATCH_EN: 0
; COMPUTE_PGM_RSRC2:USER_SGPR: 6
; COMPUTE_PGM_RSRC2:TRAP_HANDLER: 0
; COMPUTE_PGM_RSRC2:TGID_X_EN: 1
; COMPUTE_PGM_RSRC2:TGID_Y_EN: 1
; COMPUTE_PGM_RSRC2:TGID_Z_EN: 0
; COMPUTE_PGM_RSRC2:TIDIG_COMP_CNT: 0
	.section	.text._ZN9rocsolver6v33100L8set_diagIdidPKPdTnNSt9enable_ifIXoont18rocblas_is_complexIT_E18rocblas_is_complexIT1_EEiE4typeELi0EEEvPS7_llT2_lT0_lSC_b,"axG",@progbits,_ZN9rocsolver6v33100L8set_diagIdidPKPdTnNSt9enable_ifIXoont18rocblas_is_complexIT_E18rocblas_is_complexIT1_EEiE4typeELi0EEEvPS7_llT2_lT0_lSC_b,comdat
	.globl	_ZN9rocsolver6v33100L8set_diagIdidPKPdTnNSt9enable_ifIXoont18rocblas_is_complexIT_E18rocblas_is_complexIT1_EEiE4typeELi0EEEvPS7_llT2_lT0_lSC_b ; -- Begin function _ZN9rocsolver6v33100L8set_diagIdidPKPdTnNSt9enable_ifIXoont18rocblas_is_complexIT_E18rocblas_is_complexIT1_EEiE4typeELi0EEEvPS7_llT2_lT0_lSC_b
	.p2align	8
	.type	_ZN9rocsolver6v33100L8set_diagIdidPKPdTnNSt9enable_ifIXoont18rocblas_is_complexIT_E18rocblas_is_complexIT1_EEiE4typeELi0EEEvPS7_llT2_lT0_lSC_b,@function
_ZN9rocsolver6v33100L8set_diagIdidPKPdTnNSt9enable_ifIXoont18rocblas_is_complexIT_E18rocblas_is_complexIT1_EEiE4typeELi0EEEvPS7_llT2_lT0_lSC_b: ; @_ZN9rocsolver6v33100L8set_diagIdidPKPdTnNSt9enable_ifIXoont18rocblas_is_complexIT_E18rocblas_is_complexIT1_EEiE4typeELi0EEEvPS7_llT2_lT0_lSC_b
; %bb.0:
	s_load_dword s2, s[4:5], 0x4c
	s_load_dwordx2 s[0:1], s[4:5], 0x38
	s_waitcnt lgkmcnt(0)
	s_lshr_b32 s2, s2, 16
	s_mul_i32 s7, s7, s2
	v_add_u32_e32 v0, s7, v1
	v_cmp_gt_i32_e32 vcc, s0, v0
	s_and_saveexec_b64 s[2:3], vcc
	s_cbranch_execz .LBB19_2
; %bb.1:
	s_load_dwordx8 s[8:15], s[4:5], 0x0
	s_load_dwordx2 s[2:3], s[4:5], 0x20
	s_load_dword s16, s[4:5], 0x28
	s_bitcmp1_b32 s1, 0
	s_cselect_b64 vcc, -1, 0
	s_ashr_i32 s7, s6, 31
	s_lshl_b64 s[0:1], s[6:7], 3
	s_waitcnt lgkmcnt(0)
	s_add_u32 s0, s14, s0
	s_addc_u32 s1, s15, s1
	s_load_dwordx2 s[0:1], s[0:1], 0x0
	v_mad_u64_u32 v[1:2], s[4:5], v0, s16, v[0:1]
	s_lshl_b64 s[2:3], s[2:3], 3
	v_mov_b32_e32 v7, 0x3ff00000
	v_ashrrev_i32_e32 v2, 31, v1
	s_waitcnt lgkmcnt(0)
	s_add_u32 s0, s0, s2
	v_lshlrev_b64 v[1:2], 3, v[1:2]
	s_addc_u32 s1, s1, s3
	v_mov_b32_e32 v4, s1
	v_add_co_u32_e64 v3, s[0:1], s0, v1
	v_addc_co_u32_e64 v4, s[0:1], v4, v2, s[0:1]
	flat_load_dwordx2 v[5:6], v[3:4]
	s_mul_hi_u32 s1, s12, s6
	s_mul_i32 s2, s12, s7
	s_mul_i32 s3, s13, s6
	s_add_i32 s1, s1, s2
	s_mul_i32 s0, s12, s6
	s_add_i32 s1, s1, s3
	s_lshl_b64 s[0:1], s[0:1], 3
	s_add_u32 s2, s8, s0
	v_ashrrev_i32_e32 v1, 31, v0
	s_addc_u32 s3, s9, s1
	s_lshl_b64 s[0:1], s[10:11], 3
	v_lshlrev_b64 v[0:1], 3, v[0:1]
	s_add_u32 s0, s2, s0
	s_addc_u32 s1, s3, s1
	v_mov_b32_e32 v2, s1
	v_add_co_u32_e64 v0, s[0:1], s0, v0
	v_addc_co_u32_e64 v1, s[0:1], v2, v1, s[0:1]
	s_waitcnt vmcnt(0) lgkmcnt(0)
	global_store_dwordx2 v[0:1], v[5:6], off
	v_cndmask_b32_e32 v1, v6, v7, vcc
	v_cndmask_b32_e64 v0, v5, 0, vcc
	flat_store_dwordx2 v[3:4], v[0:1]
.LBB19_2:
	s_endpgm
	.section	.rodata,"a",@progbits
	.p2align	6, 0x0
	.amdhsa_kernel _ZN9rocsolver6v33100L8set_diagIdidPKPdTnNSt9enable_ifIXoont18rocblas_is_complexIT_E18rocblas_is_complexIT1_EEiE4typeELi0EEEvPS7_llT2_lT0_lSC_b
		.amdhsa_group_segment_fixed_size 0
		.amdhsa_private_segment_fixed_size 0
		.amdhsa_kernarg_size 320
		.amdhsa_user_sgpr_count 6
		.amdhsa_user_sgpr_private_segment_buffer 1
		.amdhsa_user_sgpr_dispatch_ptr 0
		.amdhsa_user_sgpr_queue_ptr 0
		.amdhsa_user_sgpr_kernarg_segment_ptr 1
		.amdhsa_user_sgpr_dispatch_id 0
		.amdhsa_user_sgpr_flat_scratch_init 0
		.amdhsa_user_sgpr_private_segment_size 0
		.amdhsa_uses_dynamic_stack 0
		.amdhsa_system_sgpr_private_segment_wavefront_offset 0
		.amdhsa_system_sgpr_workgroup_id_x 1
		.amdhsa_system_sgpr_workgroup_id_y 1
		.amdhsa_system_sgpr_workgroup_id_z 0
		.amdhsa_system_sgpr_workgroup_info 0
		.amdhsa_system_vgpr_workitem_id 1
		.amdhsa_next_free_vgpr 8
		.amdhsa_next_free_sgpr 17
		.amdhsa_reserve_vcc 1
		.amdhsa_reserve_flat_scratch 0
		.amdhsa_float_round_mode_32 0
		.amdhsa_float_round_mode_16_64 0
		.amdhsa_float_denorm_mode_32 3
		.amdhsa_float_denorm_mode_16_64 3
		.amdhsa_dx10_clamp 1
		.amdhsa_ieee_mode 1
		.amdhsa_fp16_overflow 0
		.amdhsa_exception_fp_ieee_invalid_op 0
		.amdhsa_exception_fp_denorm_src 0
		.amdhsa_exception_fp_ieee_div_zero 0
		.amdhsa_exception_fp_ieee_overflow 0
		.amdhsa_exception_fp_ieee_underflow 0
		.amdhsa_exception_fp_ieee_inexact 0
		.amdhsa_exception_int_div_zero 0
	.end_amdhsa_kernel
	.section	.text._ZN9rocsolver6v33100L8set_diagIdidPKPdTnNSt9enable_ifIXoont18rocblas_is_complexIT_E18rocblas_is_complexIT1_EEiE4typeELi0EEEvPS7_llT2_lT0_lSC_b,"axG",@progbits,_ZN9rocsolver6v33100L8set_diagIdidPKPdTnNSt9enable_ifIXoont18rocblas_is_complexIT_E18rocblas_is_complexIT1_EEiE4typeELi0EEEvPS7_llT2_lT0_lSC_b,comdat
.Lfunc_end19:
	.size	_ZN9rocsolver6v33100L8set_diagIdidPKPdTnNSt9enable_ifIXoont18rocblas_is_complexIT_E18rocblas_is_complexIT1_EEiE4typeELi0EEEvPS7_llT2_lT0_lSC_b, .Lfunc_end19-_ZN9rocsolver6v33100L8set_diagIdidPKPdTnNSt9enable_ifIXoont18rocblas_is_complexIT_E18rocblas_is_complexIT1_EEiE4typeELi0EEEvPS7_llT2_lT0_lSC_b
                                        ; -- End function
	.set _ZN9rocsolver6v33100L8set_diagIdidPKPdTnNSt9enable_ifIXoont18rocblas_is_complexIT_E18rocblas_is_complexIT1_EEiE4typeELi0EEEvPS7_llT2_lT0_lSC_b.num_vgpr, 8
	.set _ZN9rocsolver6v33100L8set_diagIdidPKPdTnNSt9enable_ifIXoont18rocblas_is_complexIT_E18rocblas_is_complexIT1_EEiE4typeELi0EEEvPS7_llT2_lT0_lSC_b.num_agpr, 0
	.set _ZN9rocsolver6v33100L8set_diagIdidPKPdTnNSt9enable_ifIXoont18rocblas_is_complexIT_E18rocblas_is_complexIT1_EEiE4typeELi0EEEvPS7_llT2_lT0_lSC_b.numbered_sgpr, 17
	.set _ZN9rocsolver6v33100L8set_diagIdidPKPdTnNSt9enable_ifIXoont18rocblas_is_complexIT_E18rocblas_is_complexIT1_EEiE4typeELi0EEEvPS7_llT2_lT0_lSC_b.num_named_barrier, 0
	.set _ZN9rocsolver6v33100L8set_diagIdidPKPdTnNSt9enable_ifIXoont18rocblas_is_complexIT_E18rocblas_is_complexIT1_EEiE4typeELi0EEEvPS7_llT2_lT0_lSC_b.private_seg_size, 0
	.set _ZN9rocsolver6v33100L8set_diagIdidPKPdTnNSt9enable_ifIXoont18rocblas_is_complexIT_E18rocblas_is_complexIT1_EEiE4typeELi0EEEvPS7_llT2_lT0_lSC_b.uses_vcc, 1
	.set _ZN9rocsolver6v33100L8set_diagIdidPKPdTnNSt9enable_ifIXoont18rocblas_is_complexIT_E18rocblas_is_complexIT1_EEiE4typeELi0EEEvPS7_llT2_lT0_lSC_b.uses_flat_scratch, 0
	.set _ZN9rocsolver6v33100L8set_diagIdidPKPdTnNSt9enable_ifIXoont18rocblas_is_complexIT_E18rocblas_is_complexIT1_EEiE4typeELi0EEEvPS7_llT2_lT0_lSC_b.has_dyn_sized_stack, 0
	.set _ZN9rocsolver6v33100L8set_diagIdidPKPdTnNSt9enable_ifIXoont18rocblas_is_complexIT_E18rocblas_is_complexIT1_EEiE4typeELi0EEEvPS7_llT2_lT0_lSC_b.has_recursion, 0
	.set _ZN9rocsolver6v33100L8set_diagIdidPKPdTnNSt9enable_ifIXoont18rocblas_is_complexIT_E18rocblas_is_complexIT1_EEiE4typeELi0EEEvPS7_llT2_lT0_lSC_b.has_indirect_call, 0
	.section	.AMDGPU.csdata,"",@progbits
; Kernel info:
; codeLenInByte = 292
; TotalNumSgprs: 21
; NumVgprs: 8
; ScratchSize: 0
; MemoryBound: 0
; FloatMode: 240
; IeeeMode: 1
; LDSByteSize: 0 bytes/workgroup (compile time only)
; SGPRBlocks: 2
; VGPRBlocks: 1
; NumSGPRsForWavesPerEU: 21
; NumVGPRsForWavesPerEU: 8
; Occupancy: 10
; WaveLimiterHint : 1
; COMPUTE_PGM_RSRC2:SCRATCH_EN: 0
; COMPUTE_PGM_RSRC2:USER_SGPR: 6
; COMPUTE_PGM_RSRC2:TRAP_HANDLER: 0
; COMPUTE_PGM_RSRC2:TGID_X_EN: 1
; COMPUTE_PGM_RSRC2:TGID_Y_EN: 1
; COMPUTE_PGM_RSRC2:TGID_Z_EN: 0
; COMPUTE_PGM_RSRC2:TIDIG_COMP_CNT: 1
	.section	.text._ZN9rocsolver6v33100L11set_taubetaIdidPKPdEEvPT_lS6_T2_llPT1_ll,"axG",@progbits,_ZN9rocsolver6v33100L11set_taubetaIdidPKPdEEvPT_lS6_T2_llPT1_ll,comdat
	.globl	_ZN9rocsolver6v33100L11set_taubetaIdidPKPdEEvPT_lS6_T2_llPT1_ll ; -- Begin function _ZN9rocsolver6v33100L11set_taubetaIdidPKPdEEvPT_lS6_T2_llPT1_ll
	.p2align	8
	.type	_ZN9rocsolver6v33100L11set_taubetaIdidPKPdEEvPT_lS6_T2_llPT1_ll,@function
_ZN9rocsolver6v33100L11set_taubetaIdidPKPdEEvPT_lS6_T2_llPT1_ll: ; @_ZN9rocsolver6v33100L11set_taubetaIdidPKPdEEvPT_lS6_T2_llPT1_ll
; %bb.0:
	s_load_dwordx8 s[8:15], s[4:5], 0x0
	s_load_dwordx2 s[20:21], s[4:5], 0x20
	s_load_dwordx4 s[0:3], s[4:5], 0x30
	s_ashr_i32 s7, s6, 31
	s_lshl_b64 s[18:19], s[6:7], 3
	s_waitcnt lgkmcnt(0)
	s_add_u32 s14, s14, s18
	s_addc_u32 s15, s15, s19
	s_load_dwordx2 s[22:23], s[14:15], 0x0
	s_mov_b64 s[16:17], 0
	s_cmp_eq_u64 s[0:1], 0
	s_mov_b64 s[14:15], 0
	s_cbranch_scc1 .LBB20_2
; %bb.1:
	s_load_dwordx2 s[4:5], s[4:5], 0x40
	s_waitcnt lgkmcnt(0)
	s_mul_i32 s14, s4, s7
	s_mul_hi_u32 s15, s4, s6
	s_mul_i32 s5, s5, s6
	s_add_i32 s14, s15, s14
	s_mul_i32 s4, s4, s6
	s_add_i32 s5, s14, s5
	s_lshl_b64 s[4:5], s[4:5], 3
	s_add_u32 s4, s0, s4
	s_addc_u32 s5, s1, s5
	s_lshl_b64 s[0:1], s[2:3], 3
	s_add_u32 s14, s4, s0
	s_addc_u32 s15, s5, s1
.LBB20_2:
	s_lshl_b64 s[0:1], s[20:21], 3
	s_waitcnt lgkmcnt(0)
	s_add_u32 s0, s22, s0
	s_mul_i32 s2, s10, s7
	s_mul_hi_u32 s3, s10, s6
	s_addc_u32 s1, s23, s1
	s_add_i32 s2, s3, s2
	s_mul_i32 s3, s11, s6
	s_add_i32 s3, s2, s3
	s_mul_i32 s2, s10, s6
	s_lshl_b64 s[2:3], s[2:3], 3
	s_add_u32 s2, s8, s2
	s_addc_u32 s3, s9, s3
	s_add_u32 s8, s12, s18
	s_addc_u32 s9, s13, s19
	s_load_dwordx2 s[10:11], s[8:9], 0x0
	s_cmp_eq_u64 s[14:15], 0
	s_cselect_b64 s[4:5], -1, 0
	s_cmp_lg_u64 s[14:15], 0
	s_cselect_b64 s[6:7], -1, 0
	s_waitcnt lgkmcnt(0)
	v_cmp_ngt_f64_e64 s[12:13], s[10:11], 0
	s_and_b64 vcc, exec, s[12:13]
	s_cbranch_vccz .LBB20_8
; %bb.3:
	v_mov_b32_e32 v0, 0
	v_mov_b32_e32 v1, 0x3ff00000
	global_store_dwordx2 v0, v[0:1], s[8:9]
	v_mov_b32_e32 v1, v0
	s_mov_b64 s[18:19], 0
	s_and_b64 vcc, exec, s[6:7]
	s_mov_b64 s[12:13], 0
	global_store_dwordx2 v0, v[0:1], s[2:3]
                                        ; implicit-def: $vgpr0_vgpr1
	s_cbranch_vccnz .LBB20_9
; %bb.4:
	s_and_b64 vcc, exec, s[18:19]
	s_cbranch_vccnz .LBB20_10
.LBB20_5:
	s_andn2_b64 vcc, exec, s[12:13]
	s_cbranch_vccz .LBB20_11
.LBB20_6:
	s_andn2_b64 vcc, exec, s[16:17]
	s_cbranch_vccz .LBB20_12
; %bb.7:
	s_endpgm
.LBB20_8:
                                        ; implicit-def: $vgpr0_vgpr1
	s_mov_b64 s[12:13], 0
	s_cbranch_execz .LBB20_5
	s_branch .LBB20_10
.LBB20_9:
	v_mov_b32_e32 v0, s0
	v_mov_b32_e32 v1, s1
	flat_load_dwordx2 v[0:1], v[0:1]
	s_mov_b64 s[12:13], -1
	s_and_b64 vcc, exec, s[18:19]
	s_cbranch_vccz .LBB20_5
.LBB20_10:
	v_mov_b32_e32 v3, s1
	v_mov_b32_e32 v2, s0
	flat_load_dwordx2 v[4:5], v[2:3]
	v_mov_b32_e32 v6, 0x100
	s_mov_b64 s[16:17], s[4:5]
	s_mov_b64 s[12:13], s[6:7]
	s_waitcnt vmcnt(0) lgkmcnt(0)
	v_fma_f64 v[0:1], v[4:5], v[4:5], s[10:11]
	s_mov_b32 s10, 0
	s_brev_b32 s11, 8
	v_cmp_gt_f64_e32 vcc, s[10:11], v[0:1]
	v_cndmask_b32_e32 v6, 0, v6, vcc
	v_ldexp_f64 v[0:1], v[0:1], v6
	v_rsq_f64_e32 v[6:7], v[0:1]
	v_mul_f64 v[8:9], v[0:1], v[6:7]
	v_mul_f64 v[6:7], v[6:7], 0.5
	v_fma_f64 v[10:11], -v[6:7], v[8:9], 0.5
	v_fma_f64 v[8:9], v[8:9], v[10:11], v[8:9]
	v_fma_f64 v[6:7], v[6:7], v[10:11], v[6:7]
	v_fma_f64 v[10:11], -v[8:9], v[8:9], v[0:1]
	v_fma_f64 v[8:9], v[10:11], v[6:7], v[8:9]
	v_fma_f64 v[10:11], -v[8:9], v[8:9], v[0:1]
	v_fma_f64 v[6:7], v[10:11], v[6:7], v[8:9]
	v_mov_b32_e32 v8, 0xffffff80
	v_mov_b32_e32 v9, 0x260
	v_cndmask_b32_e32 v8, 0, v8, vcc
	v_cmp_class_f64_e32 vcc, v[0:1], v9
	v_ldexp_f64 v[6:7], v[6:7], v8
	v_cndmask_b32_e32 v0, v6, v0, vcc
	v_cndmask_b32_e32 v1, v7, v1, vcc
	v_cmp_le_f64_e32 vcc, 0, v[4:5]
	v_xor_b32_e32 v6, 0x80000000, v1
	v_cndmask_b32_e32 v1, v1, v6, vcc
	v_add_f64 v[4:5], v[4:5], -v[0:1]
	v_div_scale_f64 v[6:7], s[10:11], v[4:5], v[4:5], 1.0
	v_rcp_f64_e32 v[8:9], v[6:7]
	v_fma_f64 v[10:11], -v[6:7], v[8:9], 1.0
	v_fma_f64 v[8:9], v[8:9], v[10:11], v[8:9]
	v_div_scale_f64 v[10:11], vcc, 1.0, v[4:5], 1.0
	v_fma_f64 v[12:13], -v[6:7], v[8:9], 1.0
	v_fma_f64 v[8:9], v[8:9], v[12:13], v[8:9]
	v_mul_f64 v[12:13], v[10:11], v[8:9]
	v_fma_f64 v[6:7], -v[6:7], v[12:13], v[10:11]
	v_div_fmas_f64 v[6:7], v[6:7], v[8:9], v[12:13]
	v_mov_b32_e32 v12, 0
	v_div_fixup_f64 v[4:5], v[6:7], v[4:5], 1.0
	global_store_dwordx2 v12, v[4:5], s[8:9]
	flat_load_dwordx2 v[2:3], v[2:3]
	s_waitcnt vmcnt(0) lgkmcnt(0)
	v_add_f64 v[2:3], v[0:1], -v[2:3]
	v_div_scale_f64 v[4:5], s[8:9], v[0:1], v[0:1], v[2:3]
	v_rcp_f64_e32 v[6:7], v[4:5]
	v_fma_f64 v[8:9], -v[4:5], v[6:7], 1.0
	v_fma_f64 v[6:7], v[6:7], v[8:9], v[6:7]
	v_div_scale_f64 v[8:9], vcc, v[2:3], v[0:1], v[2:3]
	v_fma_f64 v[10:11], -v[4:5], v[6:7], 1.0
	v_fma_f64 v[6:7], v[6:7], v[10:11], v[6:7]
	v_mul_f64 v[10:11], v[8:9], v[6:7]
	v_fma_f64 v[4:5], -v[4:5], v[10:11], v[8:9]
	v_div_fmas_f64 v[4:5], v[4:5], v[6:7], v[10:11]
	v_div_fixup_f64 v[2:3], v[4:5], v[0:1], v[2:3]
	global_store_dwordx2 v12, v[2:3], s[2:3]
	s_andn2_b64 vcc, exec, s[12:13]
	s_cbranch_vccnz .LBB20_6
.LBB20_11:
	v_mov_b32_e32 v2, 0
	s_waitcnt vmcnt(0) lgkmcnt(0)
	global_store_dwordx2 v2, v[0:1], s[14:15]
	v_mov_b32_e32 v0, 0
	v_mov_b32_e32 v1, 0x3ff00000
.LBB20_12:
	v_mov_b32_e32 v3, s1
	v_mov_b32_e32 v2, s0
	s_waitcnt vmcnt(0) lgkmcnt(0)
	flat_store_dwordx2 v[2:3], v[0:1]
	s_endpgm
	.section	.rodata,"a",@progbits
	.p2align	6, 0x0
	.amdhsa_kernel _ZN9rocsolver6v33100L11set_taubetaIdidPKPdEEvPT_lS6_T2_llPT1_ll
		.amdhsa_group_segment_fixed_size 0
		.amdhsa_private_segment_fixed_size 0
		.amdhsa_kernarg_size 72
		.amdhsa_user_sgpr_count 6
		.amdhsa_user_sgpr_private_segment_buffer 1
		.amdhsa_user_sgpr_dispatch_ptr 0
		.amdhsa_user_sgpr_queue_ptr 0
		.amdhsa_user_sgpr_kernarg_segment_ptr 1
		.amdhsa_user_sgpr_dispatch_id 0
		.amdhsa_user_sgpr_flat_scratch_init 0
		.amdhsa_user_sgpr_private_segment_size 0
		.amdhsa_uses_dynamic_stack 0
		.amdhsa_system_sgpr_private_segment_wavefront_offset 0
		.amdhsa_system_sgpr_workgroup_id_x 1
		.amdhsa_system_sgpr_workgroup_id_y 0
		.amdhsa_system_sgpr_workgroup_id_z 0
		.amdhsa_system_sgpr_workgroup_info 0
		.amdhsa_system_vgpr_workitem_id 0
		.amdhsa_next_free_vgpr 14
		.amdhsa_next_free_sgpr 24
		.amdhsa_reserve_vcc 1
		.amdhsa_reserve_flat_scratch 0
		.amdhsa_float_round_mode_32 0
		.amdhsa_float_round_mode_16_64 0
		.amdhsa_float_denorm_mode_32 3
		.amdhsa_float_denorm_mode_16_64 3
		.amdhsa_dx10_clamp 1
		.amdhsa_ieee_mode 1
		.amdhsa_fp16_overflow 0
		.amdhsa_exception_fp_ieee_invalid_op 0
		.amdhsa_exception_fp_denorm_src 0
		.amdhsa_exception_fp_ieee_div_zero 0
		.amdhsa_exception_fp_ieee_overflow 0
		.amdhsa_exception_fp_ieee_underflow 0
		.amdhsa_exception_fp_ieee_inexact 0
		.amdhsa_exception_int_div_zero 0
	.end_amdhsa_kernel
	.section	.text._ZN9rocsolver6v33100L11set_taubetaIdidPKPdEEvPT_lS6_T2_llPT1_ll,"axG",@progbits,_ZN9rocsolver6v33100L11set_taubetaIdidPKPdEEvPT_lS6_T2_llPT1_ll,comdat
.Lfunc_end20:
	.size	_ZN9rocsolver6v33100L11set_taubetaIdidPKPdEEvPT_lS6_T2_llPT1_ll, .Lfunc_end20-_ZN9rocsolver6v33100L11set_taubetaIdidPKPdEEvPT_lS6_T2_llPT1_ll
                                        ; -- End function
	.set _ZN9rocsolver6v33100L11set_taubetaIdidPKPdEEvPT_lS6_T2_llPT1_ll.num_vgpr, 14
	.set _ZN9rocsolver6v33100L11set_taubetaIdidPKPdEEvPT_lS6_T2_llPT1_ll.num_agpr, 0
	.set _ZN9rocsolver6v33100L11set_taubetaIdidPKPdEEvPT_lS6_T2_llPT1_ll.numbered_sgpr, 24
	.set _ZN9rocsolver6v33100L11set_taubetaIdidPKPdEEvPT_lS6_T2_llPT1_ll.num_named_barrier, 0
	.set _ZN9rocsolver6v33100L11set_taubetaIdidPKPdEEvPT_lS6_T2_llPT1_ll.private_seg_size, 0
	.set _ZN9rocsolver6v33100L11set_taubetaIdidPKPdEEvPT_lS6_T2_llPT1_ll.uses_vcc, 1
	.set _ZN9rocsolver6v33100L11set_taubetaIdidPKPdEEvPT_lS6_T2_llPT1_ll.uses_flat_scratch, 0
	.set _ZN9rocsolver6v33100L11set_taubetaIdidPKPdEEvPT_lS6_T2_llPT1_ll.has_dyn_sized_stack, 0
	.set _ZN9rocsolver6v33100L11set_taubetaIdidPKPdEEvPT_lS6_T2_llPT1_ll.has_recursion, 0
	.set _ZN9rocsolver6v33100L11set_taubetaIdidPKPdEEvPT_lS6_T2_llPT1_ll.has_indirect_call, 0
	.section	.AMDGPU.csdata,"",@progbits
; Kernel info:
; codeLenInByte = 824
; TotalNumSgprs: 28
; NumVgprs: 14
; ScratchSize: 0
; MemoryBound: 0
; FloatMode: 240
; IeeeMode: 1
; LDSByteSize: 0 bytes/workgroup (compile time only)
; SGPRBlocks: 3
; VGPRBlocks: 3
; NumSGPRsForWavesPerEU: 28
; NumVGPRsForWavesPerEU: 14
; Occupancy: 10
; WaveLimiterHint : 1
; COMPUTE_PGM_RSRC2:SCRATCH_EN: 0
; COMPUTE_PGM_RSRC2:USER_SGPR: 6
; COMPUTE_PGM_RSRC2:TRAP_HANDLER: 0
; COMPUTE_PGM_RSRC2:TGID_X_EN: 1
; COMPUTE_PGM_RSRC2:TGID_Y_EN: 0
; COMPUTE_PGM_RSRC2:TGID_Z_EN: 0
; COMPUTE_PGM_RSRC2:TIDIG_COMP_CNT: 0
	.section	.text._ZN9rocsolver6v33100L13conj_in_placeIdiPdTnNSt9enable_ifIXnt18rocblas_is_complexIT_EEiE4typeELi0EEEvT0_S7_T1_lS7_l,"axG",@progbits,_ZN9rocsolver6v33100L13conj_in_placeIdiPdTnNSt9enable_ifIXnt18rocblas_is_complexIT_EEiE4typeELi0EEEvT0_S7_T1_lS7_l,comdat
	.globl	_ZN9rocsolver6v33100L13conj_in_placeIdiPdTnNSt9enable_ifIXnt18rocblas_is_complexIT_EEiE4typeELi0EEEvT0_S7_T1_lS7_l ; -- Begin function _ZN9rocsolver6v33100L13conj_in_placeIdiPdTnNSt9enable_ifIXnt18rocblas_is_complexIT_EEiE4typeELi0EEEvT0_S7_T1_lS7_l
	.p2align	8
	.type	_ZN9rocsolver6v33100L13conj_in_placeIdiPdTnNSt9enable_ifIXnt18rocblas_is_complexIT_EEiE4typeELi0EEEvT0_S7_T1_lS7_l,@function
_ZN9rocsolver6v33100L13conj_in_placeIdiPdTnNSt9enable_ifIXnt18rocblas_is_complexIT_EEiE4typeELi0EEEvT0_S7_T1_lS7_l: ; @_ZN9rocsolver6v33100L13conj_in_placeIdiPdTnNSt9enable_ifIXnt18rocblas_is_complexIT_EEiE4typeELi0EEEvT0_S7_T1_lS7_l
; %bb.0:
	s_endpgm
	.section	.rodata,"a",@progbits
	.p2align	6, 0x0
	.amdhsa_kernel _ZN9rocsolver6v33100L13conj_in_placeIdiPdTnNSt9enable_ifIXnt18rocblas_is_complexIT_EEiE4typeELi0EEEvT0_S7_T1_lS7_l
		.amdhsa_group_segment_fixed_size 0
		.amdhsa_private_segment_fixed_size 0
		.amdhsa_kernarg_size 40
		.amdhsa_user_sgpr_count 6
		.amdhsa_user_sgpr_private_segment_buffer 1
		.amdhsa_user_sgpr_dispatch_ptr 0
		.amdhsa_user_sgpr_queue_ptr 0
		.amdhsa_user_sgpr_kernarg_segment_ptr 1
		.amdhsa_user_sgpr_dispatch_id 0
		.amdhsa_user_sgpr_flat_scratch_init 0
		.amdhsa_user_sgpr_private_segment_size 0
		.amdhsa_uses_dynamic_stack 0
		.amdhsa_system_sgpr_private_segment_wavefront_offset 0
		.amdhsa_system_sgpr_workgroup_id_x 1
		.amdhsa_system_sgpr_workgroup_id_y 0
		.amdhsa_system_sgpr_workgroup_id_z 0
		.amdhsa_system_sgpr_workgroup_info 0
		.amdhsa_system_vgpr_workitem_id 0
		.amdhsa_next_free_vgpr 1
		.amdhsa_next_free_sgpr 0
		.amdhsa_reserve_vcc 0
		.amdhsa_reserve_flat_scratch 0
		.amdhsa_float_round_mode_32 0
		.amdhsa_float_round_mode_16_64 0
		.amdhsa_float_denorm_mode_32 3
		.amdhsa_float_denorm_mode_16_64 3
		.amdhsa_dx10_clamp 1
		.amdhsa_ieee_mode 1
		.amdhsa_fp16_overflow 0
		.amdhsa_exception_fp_ieee_invalid_op 0
		.amdhsa_exception_fp_denorm_src 0
		.amdhsa_exception_fp_ieee_div_zero 0
		.amdhsa_exception_fp_ieee_overflow 0
		.amdhsa_exception_fp_ieee_underflow 0
		.amdhsa_exception_fp_ieee_inexact 0
		.amdhsa_exception_int_div_zero 0
	.end_amdhsa_kernel
	.section	.text._ZN9rocsolver6v33100L13conj_in_placeIdiPdTnNSt9enable_ifIXnt18rocblas_is_complexIT_EEiE4typeELi0EEEvT0_S7_T1_lS7_l,"axG",@progbits,_ZN9rocsolver6v33100L13conj_in_placeIdiPdTnNSt9enable_ifIXnt18rocblas_is_complexIT_EEiE4typeELi0EEEvT0_S7_T1_lS7_l,comdat
.Lfunc_end21:
	.size	_ZN9rocsolver6v33100L13conj_in_placeIdiPdTnNSt9enable_ifIXnt18rocblas_is_complexIT_EEiE4typeELi0EEEvT0_S7_T1_lS7_l, .Lfunc_end21-_ZN9rocsolver6v33100L13conj_in_placeIdiPdTnNSt9enable_ifIXnt18rocblas_is_complexIT_EEiE4typeELi0EEEvT0_S7_T1_lS7_l
                                        ; -- End function
	.set _ZN9rocsolver6v33100L13conj_in_placeIdiPdTnNSt9enable_ifIXnt18rocblas_is_complexIT_EEiE4typeELi0EEEvT0_S7_T1_lS7_l.num_vgpr, 0
	.set _ZN9rocsolver6v33100L13conj_in_placeIdiPdTnNSt9enable_ifIXnt18rocblas_is_complexIT_EEiE4typeELi0EEEvT0_S7_T1_lS7_l.num_agpr, 0
	.set _ZN9rocsolver6v33100L13conj_in_placeIdiPdTnNSt9enable_ifIXnt18rocblas_is_complexIT_EEiE4typeELi0EEEvT0_S7_T1_lS7_l.numbered_sgpr, 0
	.set _ZN9rocsolver6v33100L13conj_in_placeIdiPdTnNSt9enable_ifIXnt18rocblas_is_complexIT_EEiE4typeELi0EEEvT0_S7_T1_lS7_l.num_named_barrier, 0
	.set _ZN9rocsolver6v33100L13conj_in_placeIdiPdTnNSt9enable_ifIXnt18rocblas_is_complexIT_EEiE4typeELi0EEEvT0_S7_T1_lS7_l.private_seg_size, 0
	.set _ZN9rocsolver6v33100L13conj_in_placeIdiPdTnNSt9enable_ifIXnt18rocblas_is_complexIT_EEiE4typeELi0EEEvT0_S7_T1_lS7_l.uses_vcc, 0
	.set _ZN9rocsolver6v33100L13conj_in_placeIdiPdTnNSt9enable_ifIXnt18rocblas_is_complexIT_EEiE4typeELi0EEEvT0_S7_T1_lS7_l.uses_flat_scratch, 0
	.set _ZN9rocsolver6v33100L13conj_in_placeIdiPdTnNSt9enable_ifIXnt18rocblas_is_complexIT_EEiE4typeELi0EEEvT0_S7_T1_lS7_l.has_dyn_sized_stack, 0
	.set _ZN9rocsolver6v33100L13conj_in_placeIdiPdTnNSt9enable_ifIXnt18rocblas_is_complexIT_EEiE4typeELi0EEEvT0_S7_T1_lS7_l.has_recursion, 0
	.set _ZN9rocsolver6v33100L13conj_in_placeIdiPdTnNSt9enable_ifIXnt18rocblas_is_complexIT_EEiE4typeELi0EEEvT0_S7_T1_lS7_l.has_indirect_call, 0
	.section	.AMDGPU.csdata,"",@progbits
; Kernel info:
; codeLenInByte = 4
; TotalNumSgprs: 4
; NumVgprs: 0
; ScratchSize: 0
; MemoryBound: 0
; FloatMode: 240
; IeeeMode: 1
; LDSByteSize: 0 bytes/workgroup (compile time only)
; SGPRBlocks: 0
; VGPRBlocks: 0
; NumSGPRsForWavesPerEU: 4
; NumVGPRsForWavesPerEU: 1
; Occupancy: 10
; WaveLimiterHint : 0
; COMPUTE_PGM_RSRC2:SCRATCH_EN: 0
; COMPUTE_PGM_RSRC2:USER_SGPR: 6
; COMPUTE_PGM_RSRC2:TRAP_HANDLER: 0
; COMPUTE_PGM_RSRC2:TGID_X_EN: 1
; COMPUTE_PGM_RSRC2:TGID_Y_EN: 0
; COMPUTE_PGM_RSRC2:TGID_Z_EN: 0
; COMPUTE_PGM_RSRC2:TIDIG_COMP_CNT: 0
	.section	.text._ZN9rocsolver6v33100L16larf_left_kernelILi1024EdiPKPdEEvT1_S5_T2_lS5_lPKT0_lS6_lS5_l,"axG",@progbits,_ZN9rocsolver6v33100L16larf_left_kernelILi1024EdiPKPdEEvT1_S5_T2_lS5_lPKT0_lS6_lS5_l,comdat
	.globl	_ZN9rocsolver6v33100L16larf_left_kernelILi1024EdiPKPdEEvT1_S5_T2_lS5_lPKT0_lS6_lS5_l ; -- Begin function _ZN9rocsolver6v33100L16larf_left_kernelILi1024EdiPKPdEEvT1_S5_T2_lS5_lPKT0_lS6_lS5_l
	.p2align	8
	.type	_ZN9rocsolver6v33100L16larf_left_kernelILi1024EdiPKPdEEvT1_S5_T2_lS5_lPKT0_lS6_lS5_l,@function
_ZN9rocsolver6v33100L16larf_left_kernelILi1024EdiPKPdEEvT1_S5_T2_lS5_lPKT0_lS6_lS5_l: ; @_ZN9rocsolver6v33100L16larf_left_kernelILi1024EdiPKPdEEvT1_S5_T2_lS5_lPKT0_lS6_lS5_l
; %bb.0:
	s_load_dwordx8 s[12:19], s[4:5], 0x28
	s_load_dword s20, s[4:5], 0x0
	s_load_dword s6, s[4:5], 0x48
	s_ashr_i32 s9, s8, 31
	s_lshl_b64 s[2:3], s[8:9], 3
	s_waitcnt lgkmcnt(0)
	s_add_u32 s0, s16, s2
	s_addc_u32 s1, s17, s3
	s_load_dwordx2 s[10:11], s[0:1], 0x0
	v_mov_b32_e32 v1, 0
	v_cmp_gt_i32_e64 s[0:1], s20, v0
	v_mov_b32_e32 v2, 0
	s_mul_hi_i32 s17, s7, s6
	s_mul_i32 s16, s7, s6
	s_and_saveexec_b64 s[6:7], s[0:1]
	s_cbranch_execz .LBB22_6
; %bb.1:
	s_load_dword s22, s[4:5], 0x18
	s_load_dwordx4 s[24:27], s[4:5], 0x8
	s_sub_i32 s4, 1, s20
	v_lshl_add_u32 v3, v0, 3, 0
	v_add_u32_e32 v5, 0x80, v3
	s_waitcnt lgkmcnt(0)
	s_ashr_i32 s23, s22, 31
	s_mul_i32 s21, s22, s4
	v_cmp_lt_i64_e64 s[4:5], s[22:23], 1
	v_mad_i64_i32 v[1:2], s[28:29], s22, v0, 0
	s_and_b64 s[4:5], s[4:5], exec
	s_cselect_b32 s4, s21, 0
	s_ashr_i32 s5, s4, 31
	s_add_u32 s2, s24, s2
	s_addc_u32 s3, s25, s3
	s_load_dwordx2 s[2:3], s[2:3], 0x0
	s_lshl_b64 s[24:25], s[26:27], 3
	s_lshl_b64 s[4:5], s[4:5], 3
	v_lshlrev_b64 v[1:2], 3, v[1:2]
	v_mov_b32_e32 v4, v5
	s_waitcnt lgkmcnt(0)
	s_add_u32 s2, s2, s4
	s_addc_u32 s3, s3, s5
	s_add_u32 s2, s2, s24
	s_addc_u32 s3, s3, s25
	v_mov_b32_e32 v3, s3
	v_add_co_u32_e32 v1, vcc, s2, v1
	s_lshl_b64 s[4:5], s[22:23], 13
	v_addc_co_u32_e32 v2, vcc, v3, v2, vcc
	s_mov_b64 s[2:3], 0
	v_mov_b32_e32 v3, s5
	v_mov_b32_e32 v6, v0
.LBB22_2:                               ; =>This Inner Loop Header: Depth=1
	flat_load_dwordx2 v[7:8], v[1:2]
	v_add_co_u32_e32 v1, vcc, s4, v1
	v_add_u32_e32 v6, 0x400, v6
	v_addc_co_u32_e32 v2, vcc, v2, v3, vcc
	v_cmp_le_i32_e32 vcc, s20, v6
	s_or_b64 s[2:3], vcc, s[2:3]
	s_waitcnt vmcnt(0) lgkmcnt(0)
	ds_write_b64 v4, v[7:8]
	v_add_u32_e32 v4, 0x2000, v4
	s_andn2_b64 exec, exec, s[2:3]
	s_cbranch_execnz .LBB22_2
; %bb.3:
	s_or_b64 exec, exec, s[2:3]
	s_lshl_b64 s[2:3], s[16:17], 3
	s_lshl_b64 s[4:5], s[18:19], 3
	s_add_u32 s2, s2, s4
	s_addc_u32 s3, s3, s5
	s_add_u32 s2, s10, s2
	v_lshlrev_b32_e32 v1, 3, v0
	s_addc_u32 s3, s11, s3
	v_mov_b32_e32 v2, s3
	v_add_co_u32_e32 v3, vcc, s2, v1
	v_addc_co_u32_e32 v4, vcc, 0, v2, vcc
	v_mov_b32_e32 v1, 0
	v_mov_b32_e32 v2, 0
	s_mov_b64 s[4:5], 0
	v_mov_b32_e32 v6, v0
.LBB22_4:                               ; =>This Inner Loop Header: Depth=1
	flat_load_dwordx2 v[7:8], v[3:4]
	ds_read_b64 v[9:10], v5
	v_add_u32_e32 v6, 0x400, v6
	v_add_co_u32_e32 v3, vcc, 0x2000, v3
	v_cmp_le_i32_e64 s[2:3], s20, v6
	v_add_u32_e32 v5, 0x2000, v5
	s_or_b64 s[4:5], s[2:3], s[4:5]
	v_addc_co_u32_e32 v4, vcc, 0, v4, vcc
	s_waitcnt vmcnt(0) lgkmcnt(0)
	v_fma_f64 v[1:2], v[7:8], v[9:10], v[1:2]
	s_andn2_b64 exec, exec, s[4:5]
	s_cbranch_execnz .LBB22_4
; %bb.5:
	s_or_b64 exec, exec, s[4:5]
.LBB22_6:
	s_or_b64 exec, exec, s[6:7]
	v_mbcnt_lo_u32_b32 v3, -1, 0
	v_mbcnt_hi_u32_b32 v5, -1, v3
	v_and_b32_e32 v6, 63, v5
	v_cmp_ne_u32_e32 vcc, 63, v6
	v_addc_co_u32_e32 v3, vcc, 0, v5, vcc
	v_lshlrev_b32_e32 v4, 2, v3
	ds_bpermute_b32 v3, v4, v1
	ds_bpermute_b32 v4, v4, v2
	v_cmp_gt_u32_e32 vcc, 62, v6
	s_waitcnt lgkmcnt(0)
	v_add_f64 v[1:2], v[1:2], v[3:4]
	v_cndmask_b32_e64 v3, 0, 2, vcc
	v_add_lshl_u32 v4, v3, v5, 2
	v_cmp_gt_u32_e32 vcc, 60, v6
	ds_bpermute_b32 v3, v4, v1
	ds_bpermute_b32 v4, v4, v2
	s_waitcnt lgkmcnt(0)
	v_add_f64 v[1:2], v[1:2], v[3:4]
	v_cndmask_b32_e64 v3, 0, 4, vcc
	v_add_lshl_u32 v4, v3, v5, 2
	v_cmp_gt_u32_e32 vcc, 56, v6
	ds_bpermute_b32 v3, v4, v1
	ds_bpermute_b32 v4, v4, v2
	;; [unrolled: 7-line block ×3, first 2 shown]
	s_waitcnt lgkmcnt(0)
	v_add_f64 v[1:2], v[1:2], v[3:4]
	v_cndmask_b32_e64 v3, 0, 16, vcc
	v_add_lshl_u32 v4, v3, v5, 2
	ds_bpermute_b32 v3, v4, v1
	ds_bpermute_b32 v4, v4, v2
	s_waitcnt lgkmcnt(0)
	v_add_f64 v[1:2], v[1:2], v[3:4]
	v_mov_b32_e32 v3, 0x80
	v_lshl_or_b32 v4, v5, 2, v3
	ds_bpermute_b32 v3, v4, v1
	ds_bpermute_b32 v4, v4, v2
	s_waitcnt lgkmcnt(0)
	v_add_f64 v[1:2], v[1:2], v[3:4]
	v_and_b32_e32 v3, 63, v0
	v_cmp_eq_u32_e32 vcc, 0, v3
	s_and_saveexec_b64 s[2:3], vcc
; %bb.7:
	v_lshrrev_b32_e32 v3, 3, v0
	v_add_u32_e32 v3, 0, v3
	ds_write_b64 v3, v[1:2]
; %bb.8:
	s_or_b64 exec, exec, s[2:3]
	v_cmp_eq_u32_e32 vcc, 0, v0
	s_waitcnt lgkmcnt(0)
	s_barrier
	s_and_saveexec_b64 s[2:3], vcc
	s_cbranch_execz .LBB22_10
; %bb.9:
	v_mov_b32_e32 v11, 0
	ds_read2_b64 v[3:6], v11 offset0:1 offset1:2
	ds_read2_b64 v[7:10], v11 offset0:3 offset1:4
	s_waitcnt lgkmcnt(1)
	v_add_f64 v[1:2], v[1:2], v[3:4]
	v_add_f64 v[1:2], v[1:2], v[5:6]
	s_waitcnt lgkmcnt(0)
	v_add_f64 v[1:2], v[1:2], v[7:8]
	v_add_f64 v[9:10], v[1:2], v[9:10]
	ds_read2_b64 v[1:4], v11 offset0:5 offset1:6
	ds_read2_b64 v[5:8], v11 offset0:7 offset1:8
	s_waitcnt lgkmcnt(1)
	v_add_f64 v[1:2], v[9:10], v[1:2]
	v_add_f64 v[1:2], v[1:2], v[3:4]
	s_waitcnt lgkmcnt(0)
	v_add_f64 v[1:2], v[1:2], v[5:6]
	v_add_f64 v[9:10], v[1:2], v[7:8]
	;; [unrolled: 8-line block ×3, first 2 shown]
	ds_read2_b64 v[1:4], v11 offset0:13 offset1:14
	ds_read_b64 v[7:8], v11 offset:120
	s_waitcnt lgkmcnt(1)
	v_add_f64 v[1:2], v[5:6], v[1:2]
	v_add_f64 v[1:2], v[1:2], v[3:4]
	s_waitcnt lgkmcnt(0)
	v_add_f64 v[1:2], v[1:2], v[7:8]
	ds_write_b64 v11, v[1:2]
.LBB22_10:
	s_or_b64 exec, exec, s[2:3]
	s_waitcnt lgkmcnt(0)
	s_barrier
	s_and_saveexec_b64 s[2:3], s[0:1]
	s_cbranch_execz .LBB22_13
; %bb.11:
	s_mul_i32 s0, s14, s9
	s_mul_hi_u32 s1, s14, s8
	s_add_i32 s0, s1, s0
	s_mul_i32 s1, s15, s8
	s_add_i32 s1, s0, s1
	s_mul_i32 s0, s14, s8
	s_lshl_b64 s[0:1], s[0:1], 3
	s_add_u32 s0, s12, s0
	s_addc_u32 s1, s13, s1
	v_mov_b32_e32 v1, 0
	s_load_dwordx2 s[0:1], s[0:1], 0x0
	ds_read_b64 v[1:2], v1
	s_lshl_b64 s[2:3], s[18:19], 3
	v_lshlrev_b32_e32 v3, 3, v0
	v_add_u32_e32 v4, 0, v3
	v_add_u32_e32 v5, 0x80, v4
	s_waitcnt lgkmcnt(0)
	v_mul_f64 v[1:2], v[1:2], -s[0:1]
	s_lshl_b64 s[0:1], s[16:17], 3
	s_add_u32 s0, s0, s2
	s_addc_u32 s1, s1, s3
	s_add_u32 s0, s10, s0
	s_addc_u32 s1, s11, s1
	v_mov_b32_e32 v4, s1
	v_add_co_u32_e32 v3, vcc, s0, v3
	v_addc_co_u32_e32 v4, vcc, 0, v4, vcc
	s_mov_b64 s[0:1], 0
.LBB22_12:                              ; =>This Inner Loop Header: Depth=1
	flat_load_dwordx2 v[6:7], v[3:4]
	ds_read_b64 v[8:9], v5
	v_add_u32_e32 v0, 0x400, v0
	v_cmp_le_i32_e32 vcc, s20, v0
	s_or_b64 s[0:1], vcc, s[0:1]
	v_add_u32_e32 v5, 0x2000, v5
	s_waitcnt vmcnt(0) lgkmcnt(0)
	v_fma_f64 v[6:7], v[1:2], v[8:9], v[6:7]
	flat_store_dwordx2 v[3:4], v[6:7]
	v_add_co_u32_e32 v3, vcc, 0x2000, v3
	v_addc_co_u32_e32 v4, vcc, 0, v4, vcc
	s_andn2_b64 exec, exec, s[0:1]
	s_cbranch_execnz .LBB22_12
.LBB22_13:
	s_endpgm
	.section	.rodata,"a",@progbits
	.p2align	6, 0x0
	.amdhsa_kernel _ZN9rocsolver6v33100L16larf_left_kernelILi1024EdiPKPdEEvT1_S5_T2_lS5_lPKT0_lS6_lS5_l
		.amdhsa_group_segment_fixed_size 0
		.amdhsa_private_segment_fixed_size 0
		.amdhsa_kernarg_size 88
		.amdhsa_user_sgpr_count 6
		.amdhsa_user_sgpr_private_segment_buffer 1
		.amdhsa_user_sgpr_dispatch_ptr 0
		.amdhsa_user_sgpr_queue_ptr 0
		.amdhsa_user_sgpr_kernarg_segment_ptr 1
		.amdhsa_user_sgpr_dispatch_id 0
		.amdhsa_user_sgpr_flat_scratch_init 0
		.amdhsa_user_sgpr_private_segment_size 0
		.amdhsa_uses_dynamic_stack 0
		.amdhsa_system_sgpr_private_segment_wavefront_offset 0
		.amdhsa_system_sgpr_workgroup_id_x 1
		.amdhsa_system_sgpr_workgroup_id_y 1
		.amdhsa_system_sgpr_workgroup_id_z 1
		.amdhsa_system_sgpr_workgroup_info 0
		.amdhsa_system_vgpr_workitem_id 0
		.amdhsa_next_free_vgpr 12
		.amdhsa_next_free_sgpr 30
		.amdhsa_reserve_vcc 1
		.amdhsa_reserve_flat_scratch 0
		.amdhsa_float_round_mode_32 0
		.amdhsa_float_round_mode_16_64 0
		.amdhsa_float_denorm_mode_32 3
		.amdhsa_float_denorm_mode_16_64 3
		.amdhsa_dx10_clamp 1
		.amdhsa_ieee_mode 1
		.amdhsa_fp16_overflow 0
		.amdhsa_exception_fp_ieee_invalid_op 0
		.amdhsa_exception_fp_denorm_src 0
		.amdhsa_exception_fp_ieee_div_zero 0
		.amdhsa_exception_fp_ieee_overflow 0
		.amdhsa_exception_fp_ieee_underflow 0
		.amdhsa_exception_fp_ieee_inexact 0
		.amdhsa_exception_int_div_zero 0
	.end_amdhsa_kernel
	.section	.text._ZN9rocsolver6v33100L16larf_left_kernelILi1024EdiPKPdEEvT1_S5_T2_lS5_lPKT0_lS6_lS5_l,"axG",@progbits,_ZN9rocsolver6v33100L16larf_left_kernelILi1024EdiPKPdEEvT1_S5_T2_lS5_lPKT0_lS6_lS5_l,comdat
.Lfunc_end22:
	.size	_ZN9rocsolver6v33100L16larf_left_kernelILi1024EdiPKPdEEvT1_S5_T2_lS5_lPKT0_lS6_lS5_l, .Lfunc_end22-_ZN9rocsolver6v33100L16larf_left_kernelILi1024EdiPKPdEEvT1_S5_T2_lS5_lPKT0_lS6_lS5_l
                                        ; -- End function
	.set _ZN9rocsolver6v33100L16larf_left_kernelILi1024EdiPKPdEEvT1_S5_T2_lS5_lPKT0_lS6_lS5_l.num_vgpr, 12
	.set _ZN9rocsolver6v33100L16larf_left_kernelILi1024EdiPKPdEEvT1_S5_T2_lS5_lPKT0_lS6_lS5_l.num_agpr, 0
	.set _ZN9rocsolver6v33100L16larf_left_kernelILi1024EdiPKPdEEvT1_S5_T2_lS5_lPKT0_lS6_lS5_l.numbered_sgpr, 30
	.set _ZN9rocsolver6v33100L16larf_left_kernelILi1024EdiPKPdEEvT1_S5_T2_lS5_lPKT0_lS6_lS5_l.num_named_barrier, 0
	.set _ZN9rocsolver6v33100L16larf_left_kernelILi1024EdiPKPdEEvT1_S5_T2_lS5_lPKT0_lS6_lS5_l.private_seg_size, 0
	.set _ZN9rocsolver6v33100L16larf_left_kernelILi1024EdiPKPdEEvT1_S5_T2_lS5_lPKT0_lS6_lS5_l.uses_vcc, 1
	.set _ZN9rocsolver6v33100L16larf_left_kernelILi1024EdiPKPdEEvT1_S5_T2_lS5_lPKT0_lS6_lS5_l.uses_flat_scratch, 0
	.set _ZN9rocsolver6v33100L16larf_left_kernelILi1024EdiPKPdEEvT1_S5_T2_lS5_lPKT0_lS6_lS5_l.has_dyn_sized_stack, 0
	.set _ZN9rocsolver6v33100L16larf_left_kernelILi1024EdiPKPdEEvT1_S5_T2_lS5_lPKT0_lS6_lS5_l.has_recursion, 0
	.set _ZN9rocsolver6v33100L16larf_left_kernelILi1024EdiPKPdEEvT1_S5_T2_lS5_lPKT0_lS6_lS5_l.has_indirect_call, 0
	.section	.AMDGPU.csdata,"",@progbits
; Kernel info:
; codeLenInByte = 1252
; TotalNumSgprs: 34
; NumVgprs: 12
; ScratchSize: 0
; MemoryBound: 0
; FloatMode: 240
; IeeeMode: 1
; LDSByteSize: 0 bytes/workgroup (compile time only)
; SGPRBlocks: 4
; VGPRBlocks: 2
; NumSGPRsForWavesPerEU: 34
; NumVGPRsForWavesPerEU: 12
; Occupancy: 10
; WaveLimiterHint : 0
; COMPUTE_PGM_RSRC2:SCRATCH_EN: 0
; COMPUTE_PGM_RSRC2:USER_SGPR: 6
; COMPUTE_PGM_RSRC2:TRAP_HANDLER: 0
; COMPUTE_PGM_RSRC2:TGID_X_EN: 1
; COMPUTE_PGM_RSRC2:TGID_Y_EN: 1
; COMPUTE_PGM_RSRC2:TGID_Z_EN: 1
; COMPUTE_PGM_RSRC2:TIDIG_COMP_CNT: 0
	.section	.text._ZN9rocsolver6v33100L17larf_right_kernelILi1024EdiPKPdEEvT1_S5_T2_lS5_lPKT0_lS6_lS5_l,"axG",@progbits,_ZN9rocsolver6v33100L17larf_right_kernelILi1024EdiPKPdEEvT1_S5_T2_lS5_lPKT0_lS6_lS5_l,comdat
	.globl	_ZN9rocsolver6v33100L17larf_right_kernelILi1024EdiPKPdEEvT1_S5_T2_lS5_lPKT0_lS6_lS5_l ; -- Begin function _ZN9rocsolver6v33100L17larf_right_kernelILi1024EdiPKPdEEvT1_S5_T2_lS5_lPKT0_lS6_lS5_l
	.p2align	8
	.type	_ZN9rocsolver6v33100L17larf_right_kernelILi1024EdiPKPdEEvT1_S5_T2_lS5_lPKT0_lS6_lS5_l,@function
_ZN9rocsolver6v33100L17larf_right_kernelILi1024EdiPKPdEEvT1_S5_T2_lS5_lPKT0_lS6_lS5_l: ; @_ZN9rocsolver6v33100L17larf_right_kernelILi1024EdiPKPdEEvT1_S5_T2_lS5_lPKT0_lS6_lS5_l
; %bb.0:
	s_load_dwordx8 s[12:19], s[4:5], 0x28
	s_load_dword s24, s[4:5], 0x4
	s_load_dword s6, s[4:5], 0x48
	s_ashr_i32 s9, s8, 31
	s_lshl_b64 s[0:1], s[8:9], 3
	s_waitcnt lgkmcnt(0)
	s_add_u32 s2, s16, s0
	s_addc_u32 s3, s17, s1
	s_load_dwordx2 s[16:17], s[2:3], 0x0
	v_mov_b32_e32 v1, 0
	s_mov_b32 s10, s7
	s_ashr_i32 s11, s7, 31
	v_cmp_gt_i32_e32 vcc, s24, v0
	v_mov_b32_e32 v2, 0
	v_lshl_add_u32 v5, v0, 3, 0
	s_and_saveexec_b64 s[20:21], vcc
	s_cbranch_execz .LBB23_6
; %bb.1:
	s_load_dword s2, s[4:5], 0x18
	s_load_dwordx4 s[28:31], s[4:5], 0x8
	s_sub_i32 s4, 1, s24
	v_add_u32_e32 v6, 0x80, v5
	v_mov_b32_e32 v4, v6
	s_waitcnt lgkmcnt(0)
	s_ashr_i32 s3, s2, 31
	s_mul_i32 s7, s2, s4
	v_cmp_lt_i64_e64 s[4:5], s[2:3], 1
	v_mad_i64_i32 v[1:2], s[22:23], s2, v0, 0
	s_and_b64 s[4:5], s[4:5], exec
	s_cselect_b32 s4, s7, 0
	s_ashr_i32 s5, s4, 31
	s_add_u32 s0, s28, s0
	s_addc_u32 s1, s29, s1
	s_load_dwordx2 s[0:1], s[0:1], 0x0
	s_lshl_b64 s[22:23], s[30:31], 3
	s_lshl_b64 s[4:5], s[4:5], 3
	v_lshlrev_b64 v[1:2], 3, v[1:2]
	v_mov_b32_e32 v7, v0
	s_waitcnt lgkmcnt(0)
	s_add_u32 s0, s0, s4
	s_addc_u32 s1, s1, s5
	s_add_u32 s0, s0, s22
	s_addc_u32 s1, s1, s23
	v_mov_b32_e32 v3, s1
	v_add_co_u32_e64 v1, s[0:1], s0, v1
	s_lshl_b64 s[4:5], s[2:3], 13
	v_addc_co_u32_e64 v2, s[0:1], v3, v2, s[0:1]
	s_mov_b64 s[2:3], 0
	v_mov_b32_e32 v3, s5
.LBB23_2:                               ; =>This Inner Loop Header: Depth=1
	flat_load_dwordx2 v[8:9], v[1:2]
	v_add_co_u32_e64 v1, s[0:1], s4, v1
	v_add_u32_e32 v7, 0x400, v7
	v_addc_co_u32_e64 v2, s[0:1], v2, v3, s[0:1]
	v_cmp_le_i32_e64 s[0:1], s24, v7
	s_or_b64 s[2:3], s[0:1], s[2:3]
	s_waitcnt vmcnt(0) lgkmcnt(0)
	ds_write_b64 v4, v[8:9]
	v_add_u32_e32 v4, 0x2000, v4
	s_andn2_b64 exec, exec, s[2:3]
	s_cbranch_execnz .LBB23_2
; %bb.3:
	s_or_b64 exec, exec, s[2:3]
	v_mad_i64_i32 v[1:2], s[0:1], s6, v0, 0
	s_ashr_i32 s7, s6, 31
	s_lshl_b64 s[0:1], s[18:19], 3
	s_lshl_b64 s[2:3], s[10:11], 3
	s_add_u32 s2, s16, s2
	s_addc_u32 s3, s17, s3
	v_lshlrev_b64 v[1:2], 3, v[1:2]
	s_add_u32 s0, s2, s0
	s_addc_u32 s1, s3, s1
	v_mov_b32_e32 v4, s1
	v_add_co_u32_e64 v3, s[0:1], s0, v1
	v_addc_co_u32_e64 v4, s[0:1], v4, v2, s[0:1]
	s_lshl_b64 s[4:5], s[6:7], 13
	v_mov_b32_e32 v1, 0
	v_mov_b32_e32 v2, 0
	s_mov_b64 s[22:23], 0
	v_mov_b32_e32 v7, s5
	v_mov_b32_e32 v8, v0
.LBB23_4:                               ; =>This Inner Loop Header: Depth=1
	flat_load_dwordx2 v[9:10], v[3:4]
	ds_read_b64 v[11:12], v6
	v_add_u32_e32 v8, 0x400, v8
	v_add_co_u32_e64 v3, s[0:1], s4, v3
	v_cmp_le_i32_e64 s[2:3], s24, v8
	v_add_u32_e32 v6, 0x2000, v6
	s_or_b64 s[22:23], s[2:3], s[22:23]
	v_addc_co_u32_e64 v4, s[0:1], v4, v7, s[0:1]
	s_waitcnt vmcnt(0) lgkmcnt(0)
	v_fma_f64 v[1:2], v[9:10], v[11:12], v[1:2]
	s_andn2_b64 exec, exec, s[22:23]
	s_cbranch_execnz .LBB23_4
; %bb.5:
	s_or_b64 exec, exec, s[22:23]
.LBB23_6:
	s_or_b64 exec, exec, s[20:21]
	v_mbcnt_lo_u32_b32 v3, -1, 0
	v_mbcnt_hi_u32_b32 v6, -1, v3
	v_and_b32_e32 v7, 63, v6
	v_cmp_ne_u32_e64 s[0:1], 63, v7
	v_addc_co_u32_e64 v3, s[0:1], 0, v6, s[0:1]
	v_lshlrev_b32_e32 v4, 2, v3
	ds_bpermute_b32 v3, v4, v1
	ds_bpermute_b32 v4, v4, v2
	v_cmp_gt_u32_e64 s[0:1], 62, v7
	s_waitcnt lgkmcnt(0)
	v_add_f64 v[1:2], v[1:2], v[3:4]
	v_cndmask_b32_e64 v3, 0, 2, s[0:1]
	v_add_lshl_u32 v4, v3, v6, 2
	v_cmp_gt_u32_e64 s[0:1], 60, v7
	ds_bpermute_b32 v3, v4, v1
	ds_bpermute_b32 v4, v4, v2
	s_waitcnt lgkmcnt(0)
	v_add_f64 v[1:2], v[1:2], v[3:4]
	v_cndmask_b32_e64 v3, 0, 4, s[0:1]
	v_add_lshl_u32 v4, v3, v6, 2
	v_cmp_gt_u32_e64 s[0:1], 56, v7
	ds_bpermute_b32 v3, v4, v1
	ds_bpermute_b32 v4, v4, v2
	;; [unrolled: 7-line block ×3, first 2 shown]
	s_waitcnt lgkmcnt(0)
	v_add_f64 v[1:2], v[1:2], v[3:4]
	v_cndmask_b32_e64 v3, 0, 16, s[0:1]
	v_add_lshl_u32 v4, v3, v6, 2
	ds_bpermute_b32 v3, v4, v1
	ds_bpermute_b32 v4, v4, v2
	s_waitcnt lgkmcnt(0)
	v_add_f64 v[1:2], v[1:2], v[3:4]
	v_mov_b32_e32 v3, 0x80
	v_lshl_or_b32 v4, v6, 2, v3
	ds_bpermute_b32 v3, v4, v1
	ds_bpermute_b32 v4, v4, v2
	s_waitcnt lgkmcnt(0)
	v_add_f64 v[1:2], v[1:2], v[3:4]
	v_and_b32_e32 v3, 63, v0
	v_cmp_eq_u32_e64 s[0:1], 0, v3
	s_and_saveexec_b64 s[2:3], s[0:1]
; %bb.7:
	v_lshrrev_b32_e32 v3, 3, v0
	v_add_u32_e32 v3, 0, v3
	ds_write_b64 v3, v[1:2]
; %bb.8:
	s_or_b64 exec, exec, s[2:3]
	v_cmp_eq_u32_e64 s[0:1], 0, v0
	s_waitcnt lgkmcnt(0)
	s_barrier
	s_and_saveexec_b64 s[2:3], s[0:1]
	s_cbranch_execz .LBB23_10
; %bb.9:
	v_mov_b32_e32 v14, 0
	ds_read2_b64 v[6:9], v14 offset0:1 offset1:2
	ds_read2_b64 v[10:13], v14 offset0:3 offset1:4
	s_waitcnt lgkmcnt(1)
	v_add_f64 v[1:2], v[1:2], v[6:7]
	v_add_f64 v[1:2], v[1:2], v[8:9]
	s_waitcnt lgkmcnt(0)
	v_add_f64 v[1:2], v[1:2], v[10:11]
	v_add_f64 v[10:11], v[1:2], v[12:13]
	ds_read2_b64 v[1:4], v14 offset0:5 offset1:6
	ds_read2_b64 v[6:9], v14 offset0:7 offset1:8
	s_waitcnt lgkmcnt(1)
	v_add_f64 v[1:2], v[10:11], v[1:2]
	v_add_f64 v[1:2], v[1:2], v[3:4]
	s_waitcnt lgkmcnt(0)
	v_add_f64 v[1:2], v[1:2], v[6:7]
	v_add_f64 v[10:11], v[1:2], v[8:9]
	;; [unrolled: 8-line block ×3, first 2 shown]
	ds_read2_b64 v[1:4], v14 offset0:13 offset1:14
	ds_read_b64 v[8:9], v14 offset:120
	s_waitcnt lgkmcnt(1)
	v_add_f64 v[1:2], v[6:7], v[1:2]
	v_add_f64 v[1:2], v[1:2], v[3:4]
	s_waitcnt lgkmcnt(0)
	v_add_f64 v[1:2], v[1:2], v[8:9]
	ds_write_b64 v14, v[1:2]
.LBB23_10:
	s_or_b64 exec, exec, s[2:3]
	s_waitcnt lgkmcnt(0)
	s_barrier
	s_and_saveexec_b64 s[0:1], vcc
	s_cbranch_execz .LBB23_13
; %bb.11:
	s_mul_i32 s0, s14, s9
	s_mul_hi_u32 s1, s14, s8
	s_add_i32 s0, s1, s0
	s_mul_i32 s1, s15, s8
	s_add_i32 s1, s0, s1
	s_mul_i32 s0, s14, s8
	s_lshl_b64 s[0:1], s[0:1], 3
	s_add_u32 s0, s12, s0
	s_addc_u32 s1, s13, s1
	v_mov_b32_e32 v1, 0
	s_load_dwordx2 s[0:1], s[0:1], 0x0
	ds_read_b64 v[1:2], v1
	v_mad_i64_i32 v[3:4], s[2:3], s6, v0, 0
	s_ashr_i32 s7, s6, 31
	s_lshl_b64 s[2:3], s[10:11], 3
	s_waitcnt lgkmcnt(0)
	v_mul_f64 v[1:2], v[1:2], -s[0:1]
	s_lshl_b64 s[0:1], s[18:19], 3
	s_add_u32 s2, s16, s2
	s_addc_u32 s3, s17, s3
	v_lshlrev_b64 v[3:4], 3, v[3:4]
	s_add_u32 s0, s2, s0
	s_addc_u32 s1, s3, s1
	v_mov_b32_e32 v6, s1
	v_add_co_u32_e32 v3, vcc, s0, v3
	s_lshl_b64 s[0:1], s[6:7], 13
	v_add_u32_e32 v5, 0x80, v5
	v_addc_co_u32_e32 v4, vcc, v6, v4, vcc
	s_mov_b64 s[2:3], 0
	v_mov_b32_e32 v6, s1
.LBB23_12:                              ; =>This Inner Loop Header: Depth=1
	flat_load_dwordx2 v[7:8], v[3:4]
	ds_read_b64 v[9:10], v5
	v_add_u32_e32 v0, 0x400, v0
	v_cmp_le_i32_e32 vcc, s24, v0
	s_or_b64 s[2:3], vcc, s[2:3]
	v_add_u32_e32 v5, 0x2000, v5
	s_waitcnt vmcnt(0) lgkmcnt(0)
	v_fma_f64 v[7:8], v[1:2], v[9:10], v[7:8]
	flat_store_dwordx2 v[3:4], v[7:8]
	v_add_co_u32_e32 v3, vcc, s0, v3
	v_addc_co_u32_e32 v4, vcc, v4, v6, vcc
	s_andn2_b64 exec, exec, s[2:3]
	s_cbranch_execnz .LBB23_12
.LBB23_13:
	s_endpgm
	.section	.rodata,"a",@progbits
	.p2align	6, 0x0
	.amdhsa_kernel _ZN9rocsolver6v33100L17larf_right_kernelILi1024EdiPKPdEEvT1_S5_T2_lS5_lPKT0_lS6_lS5_l
		.amdhsa_group_segment_fixed_size 0
		.amdhsa_private_segment_fixed_size 0
		.amdhsa_kernarg_size 88
		.amdhsa_user_sgpr_count 6
		.amdhsa_user_sgpr_private_segment_buffer 1
		.amdhsa_user_sgpr_dispatch_ptr 0
		.amdhsa_user_sgpr_queue_ptr 0
		.amdhsa_user_sgpr_kernarg_segment_ptr 1
		.amdhsa_user_sgpr_dispatch_id 0
		.amdhsa_user_sgpr_flat_scratch_init 0
		.amdhsa_user_sgpr_private_segment_size 0
		.amdhsa_uses_dynamic_stack 0
		.amdhsa_system_sgpr_private_segment_wavefront_offset 0
		.amdhsa_system_sgpr_workgroup_id_x 1
		.amdhsa_system_sgpr_workgroup_id_y 1
		.amdhsa_system_sgpr_workgroup_id_z 1
		.amdhsa_system_sgpr_workgroup_info 0
		.amdhsa_system_vgpr_workitem_id 0
		.amdhsa_next_free_vgpr 15
		.amdhsa_next_free_sgpr 32
		.amdhsa_reserve_vcc 1
		.amdhsa_reserve_flat_scratch 0
		.amdhsa_float_round_mode_32 0
		.amdhsa_float_round_mode_16_64 0
		.amdhsa_float_denorm_mode_32 3
		.amdhsa_float_denorm_mode_16_64 3
		.amdhsa_dx10_clamp 1
		.amdhsa_ieee_mode 1
		.amdhsa_fp16_overflow 0
		.amdhsa_exception_fp_ieee_invalid_op 0
		.amdhsa_exception_fp_denorm_src 0
		.amdhsa_exception_fp_ieee_div_zero 0
		.amdhsa_exception_fp_ieee_overflow 0
		.amdhsa_exception_fp_ieee_underflow 0
		.amdhsa_exception_fp_ieee_inexact 0
		.amdhsa_exception_int_div_zero 0
	.end_amdhsa_kernel
	.section	.text._ZN9rocsolver6v33100L17larf_right_kernelILi1024EdiPKPdEEvT1_S5_T2_lS5_lPKT0_lS6_lS5_l,"axG",@progbits,_ZN9rocsolver6v33100L17larf_right_kernelILi1024EdiPKPdEEvT1_S5_T2_lS5_lPKT0_lS6_lS5_l,comdat
.Lfunc_end23:
	.size	_ZN9rocsolver6v33100L17larf_right_kernelILi1024EdiPKPdEEvT1_S5_T2_lS5_lPKT0_lS6_lS5_l, .Lfunc_end23-_ZN9rocsolver6v33100L17larf_right_kernelILi1024EdiPKPdEEvT1_S5_T2_lS5_lPKT0_lS6_lS5_l
                                        ; -- End function
	.set _ZN9rocsolver6v33100L17larf_right_kernelILi1024EdiPKPdEEvT1_S5_T2_lS5_lPKT0_lS6_lS5_l.num_vgpr, 15
	.set _ZN9rocsolver6v33100L17larf_right_kernelILi1024EdiPKPdEEvT1_S5_T2_lS5_lPKT0_lS6_lS5_l.num_agpr, 0
	.set _ZN9rocsolver6v33100L17larf_right_kernelILi1024EdiPKPdEEvT1_S5_T2_lS5_lPKT0_lS6_lS5_l.numbered_sgpr, 32
	.set _ZN9rocsolver6v33100L17larf_right_kernelILi1024EdiPKPdEEvT1_S5_T2_lS5_lPKT0_lS6_lS5_l.num_named_barrier, 0
	.set _ZN9rocsolver6v33100L17larf_right_kernelILi1024EdiPKPdEEvT1_S5_T2_lS5_lPKT0_lS6_lS5_l.private_seg_size, 0
	.set _ZN9rocsolver6v33100L17larf_right_kernelILi1024EdiPKPdEEvT1_S5_T2_lS5_lPKT0_lS6_lS5_l.uses_vcc, 1
	.set _ZN9rocsolver6v33100L17larf_right_kernelILi1024EdiPKPdEEvT1_S5_T2_lS5_lPKT0_lS6_lS5_l.uses_flat_scratch, 0
	.set _ZN9rocsolver6v33100L17larf_right_kernelILi1024EdiPKPdEEvT1_S5_T2_lS5_lPKT0_lS6_lS5_l.has_dyn_sized_stack, 0
	.set _ZN9rocsolver6v33100L17larf_right_kernelILi1024EdiPKPdEEvT1_S5_T2_lS5_lPKT0_lS6_lS5_l.has_recursion, 0
	.set _ZN9rocsolver6v33100L17larf_right_kernelILi1024EdiPKPdEEvT1_S5_T2_lS5_lPKT0_lS6_lS5_l.has_indirect_call, 0
	.section	.AMDGPU.csdata,"",@progbits
; Kernel info:
; codeLenInByte = 1352
; TotalNumSgprs: 36
; NumVgprs: 15
; ScratchSize: 0
; MemoryBound: 0
; FloatMode: 240
; IeeeMode: 1
; LDSByteSize: 0 bytes/workgroup (compile time only)
; SGPRBlocks: 4
; VGPRBlocks: 3
; NumSGPRsForWavesPerEU: 36
; NumVGPRsForWavesPerEU: 15
; Occupancy: 10
; WaveLimiterHint : 0
; COMPUTE_PGM_RSRC2:SCRATCH_EN: 0
; COMPUTE_PGM_RSRC2:USER_SGPR: 6
; COMPUTE_PGM_RSRC2:TRAP_HANDLER: 0
; COMPUTE_PGM_RSRC2:TGID_X_EN: 1
; COMPUTE_PGM_RSRC2:TGID_Y_EN: 1
; COMPUTE_PGM_RSRC2:TGID_Z_EN: 1
; COMPUTE_PGM_RSRC2:TIDIG_COMP_CNT: 0
	.section	.text._ZN9rocsolver6v33100L9get_arrayIdiEEvPPT_S3_lT0_,"axG",@progbits,_ZN9rocsolver6v33100L9get_arrayIdiEEvPPT_S3_lT0_,comdat
	.globl	_ZN9rocsolver6v33100L9get_arrayIdiEEvPPT_S3_lT0_ ; -- Begin function _ZN9rocsolver6v33100L9get_arrayIdiEEvPPT_S3_lT0_
	.p2align	8
	.type	_ZN9rocsolver6v33100L9get_arrayIdiEEvPPT_S3_lT0_,@function
_ZN9rocsolver6v33100L9get_arrayIdiEEvPPT_S3_lT0_: ; @_ZN9rocsolver6v33100L9get_arrayIdiEEvPPT_S3_lT0_
; %bb.0:
	s_load_dword s0, s[4:5], 0x2c
	s_load_dword s1, s[4:5], 0x18
	s_waitcnt lgkmcnt(0)
	s_and_b32 s0, s0, 0xffff
	s_mul_i32 s6, s6, s0
	v_add_u32_e32 v0, s6, v0
	v_cmp_gt_i32_e32 vcc, s1, v0
	s_and_saveexec_b64 s[0:1], vcc
	s_cbranch_execz .LBB24_2
; %bb.1:
	s_load_dwordx2 s[6:7], s[4:5], 0x10
	s_load_dwordx4 s[0:3], s[4:5], 0x0
	v_ashrrev_i32_e32 v1, 31, v0
	s_waitcnt lgkmcnt(0)
	v_mul_lo_u32 v4, s7, v0
	v_mul_lo_u32 v5, s6, v1
	v_mad_u64_u32 v[2:3], s[4:5], s6, v0, 0
	v_mov_b32_e32 v6, s3
	v_lshlrev_b64 v[0:1], 3, v[0:1]
	v_add3_u32 v3, v3, v5, v4
	v_lshlrev_b64 v[2:3], 3, v[2:3]
	v_mov_b32_e32 v4, s1
	v_add_co_u32_e32 v2, vcc, s2, v2
	v_addc_co_u32_e32 v3, vcc, v6, v3, vcc
	v_add_co_u32_e32 v0, vcc, s0, v0
	v_addc_co_u32_e32 v1, vcc, v4, v1, vcc
	global_store_dwordx2 v[0:1], v[2:3], off
.LBB24_2:
	s_endpgm
	.section	.rodata,"a",@progbits
	.p2align	6, 0x0
	.amdhsa_kernel _ZN9rocsolver6v33100L9get_arrayIdiEEvPPT_S3_lT0_
		.amdhsa_group_segment_fixed_size 0
		.amdhsa_private_segment_fixed_size 0
		.amdhsa_kernarg_size 288
		.amdhsa_user_sgpr_count 6
		.amdhsa_user_sgpr_private_segment_buffer 1
		.amdhsa_user_sgpr_dispatch_ptr 0
		.amdhsa_user_sgpr_queue_ptr 0
		.amdhsa_user_sgpr_kernarg_segment_ptr 1
		.amdhsa_user_sgpr_dispatch_id 0
		.amdhsa_user_sgpr_flat_scratch_init 0
		.amdhsa_user_sgpr_private_segment_size 0
		.amdhsa_uses_dynamic_stack 0
		.amdhsa_system_sgpr_private_segment_wavefront_offset 0
		.amdhsa_system_sgpr_workgroup_id_x 1
		.amdhsa_system_sgpr_workgroup_id_y 0
		.amdhsa_system_sgpr_workgroup_id_z 0
		.amdhsa_system_sgpr_workgroup_info 0
		.amdhsa_system_vgpr_workitem_id 0
		.amdhsa_next_free_vgpr 7
		.amdhsa_next_free_sgpr 8
		.amdhsa_reserve_vcc 1
		.amdhsa_reserve_flat_scratch 0
		.amdhsa_float_round_mode_32 0
		.amdhsa_float_round_mode_16_64 0
		.amdhsa_float_denorm_mode_32 3
		.amdhsa_float_denorm_mode_16_64 3
		.amdhsa_dx10_clamp 1
		.amdhsa_ieee_mode 1
		.amdhsa_fp16_overflow 0
		.amdhsa_exception_fp_ieee_invalid_op 0
		.amdhsa_exception_fp_denorm_src 0
		.amdhsa_exception_fp_ieee_div_zero 0
		.amdhsa_exception_fp_ieee_overflow 0
		.amdhsa_exception_fp_ieee_underflow 0
		.amdhsa_exception_fp_ieee_inexact 0
		.amdhsa_exception_int_div_zero 0
	.end_amdhsa_kernel
	.section	.text._ZN9rocsolver6v33100L9get_arrayIdiEEvPPT_S3_lT0_,"axG",@progbits,_ZN9rocsolver6v33100L9get_arrayIdiEEvPPT_S3_lT0_,comdat
.Lfunc_end24:
	.size	_ZN9rocsolver6v33100L9get_arrayIdiEEvPPT_S3_lT0_, .Lfunc_end24-_ZN9rocsolver6v33100L9get_arrayIdiEEvPPT_S3_lT0_
                                        ; -- End function
	.set _ZN9rocsolver6v33100L9get_arrayIdiEEvPPT_S3_lT0_.num_vgpr, 7
	.set _ZN9rocsolver6v33100L9get_arrayIdiEEvPPT_S3_lT0_.num_agpr, 0
	.set _ZN9rocsolver6v33100L9get_arrayIdiEEvPPT_S3_lT0_.numbered_sgpr, 8
	.set _ZN9rocsolver6v33100L9get_arrayIdiEEvPPT_S3_lT0_.num_named_barrier, 0
	.set _ZN9rocsolver6v33100L9get_arrayIdiEEvPPT_S3_lT0_.private_seg_size, 0
	.set _ZN9rocsolver6v33100L9get_arrayIdiEEvPPT_S3_lT0_.uses_vcc, 1
	.set _ZN9rocsolver6v33100L9get_arrayIdiEEvPPT_S3_lT0_.uses_flat_scratch, 0
	.set _ZN9rocsolver6v33100L9get_arrayIdiEEvPPT_S3_lT0_.has_dyn_sized_stack, 0
	.set _ZN9rocsolver6v33100L9get_arrayIdiEEvPPT_S3_lT0_.has_recursion, 0
	.set _ZN9rocsolver6v33100L9get_arrayIdiEEvPPT_S3_lT0_.has_indirect_call, 0
	.section	.AMDGPU.csdata,"",@progbits
; Kernel info:
; codeLenInByte = 156
; TotalNumSgprs: 12
; NumVgprs: 7
; ScratchSize: 0
; MemoryBound: 0
; FloatMode: 240
; IeeeMode: 1
; LDSByteSize: 0 bytes/workgroup (compile time only)
; SGPRBlocks: 1
; VGPRBlocks: 1
; NumSGPRsForWavesPerEU: 12
; NumVGPRsForWavesPerEU: 7
; Occupancy: 10
; WaveLimiterHint : 0
; COMPUTE_PGM_RSRC2:SCRATCH_EN: 0
; COMPUTE_PGM_RSRC2:USER_SGPR: 6
; COMPUTE_PGM_RSRC2:TRAP_HANDLER: 0
; COMPUTE_PGM_RSRC2:TGID_X_EN: 1
; COMPUTE_PGM_RSRC2:TGID_Y_EN: 0
; COMPUTE_PGM_RSRC2:TGID_Z_EN: 0
; COMPUTE_PGM_RSRC2:TIDIG_COMP_CNT: 0
	.section	.text._ZN9rocsolver6v33100L12restore_diagIdidPKPdEEvPT1_llT2_lT0_lS8_,"axG",@progbits,_ZN9rocsolver6v33100L12restore_diagIdidPKPdEEvPT1_llT2_lT0_lS8_,comdat
	.globl	_ZN9rocsolver6v33100L12restore_diagIdidPKPdEEvPT1_llT2_lT0_lS8_ ; -- Begin function _ZN9rocsolver6v33100L12restore_diagIdidPKPdEEvPT1_llT2_lT0_lS8_
	.p2align	8
	.type	_ZN9rocsolver6v33100L12restore_diagIdidPKPdEEvPT1_llT2_lT0_lS8_,@function
_ZN9rocsolver6v33100L12restore_diagIdidPKPdEEvPT1_llT2_lT0_lS8_: ; @_ZN9rocsolver6v33100L12restore_diagIdidPKPdEEvPT1_llT2_lT0_lS8_
; %bb.0:
	s_load_dword s0, s[4:5], 0x4c
	s_load_dword s1, s[4:5], 0x38
	s_waitcnt lgkmcnt(0)
	s_lshr_b32 s0, s0, 16
	s_mul_i32 s7, s7, s0
	v_add_u32_e32 v0, s7, v1
	v_cmp_gt_i32_e32 vcc, s1, v0
	s_and_saveexec_b64 s[0:1], vcc
	s_cbranch_execz .LBB25_2
; %bb.1:
	s_load_dwordx8 s[8:15], s[4:5], 0x0
	s_load_dwordx2 s[0:1], s[4:5], 0x20
	s_ashr_i32 s7, s6, 31
	s_lshl_b64 s[2:3], s[6:7], 3
	s_waitcnt lgkmcnt(0)
	s_add_u32 s2, s14, s2
	s_addc_u32 s3, s15, s3
	s_load_dwordx2 s[14:15], s[2:3], 0x0
	s_load_dword s16, s[4:5], 0x28
	s_lshl_b64 s[0:1], s[0:1], 3
	s_mul_hi_u32 s2, s12, s6
	s_mul_i32 s3, s12, s7
	s_waitcnt lgkmcnt(0)
	s_add_u32 s4, s14, s0
	s_addc_u32 s5, s15, s1
	s_add_i32 s0, s2, s3
	s_mul_i32 s1, s13, s6
	s_add_i32 s1, s0, s1
	s_mul_i32 s0, s12, s6
	s_lshl_b64 s[0:1], s[0:1], 3
	s_add_u32 s2, s8, s0
	s_addc_u32 s3, s9, s1
	s_lshl_b64 s[0:1], s[10:11], 3
	s_add_u32 s2, s2, s0
	s_addc_u32 s3, s3, s1
	v_mad_u64_u32 v[2:3], s[0:1], v0, s16, v[0:1]
	v_ashrrev_i32_e32 v1, 31, v0
	v_lshlrev_b64 v[0:1], 3, v[0:1]
	v_mov_b32_e32 v3, s3
	v_add_co_u32_e32 v0, vcc, s2, v0
	v_addc_co_u32_e32 v1, vcc, v3, v1, vcc
	global_load_dwordx2 v[0:1], v[0:1], off
	v_ashrrev_i32_e32 v3, 31, v2
	v_lshlrev_b64 v[2:3], 3, v[2:3]
	v_mov_b32_e32 v4, s5
	v_add_co_u32_e32 v2, vcc, s4, v2
	v_addc_co_u32_e32 v3, vcc, v4, v3, vcc
	s_waitcnt vmcnt(0)
	flat_store_dwordx2 v[2:3], v[0:1]
.LBB25_2:
	s_endpgm
	.section	.rodata,"a",@progbits
	.p2align	6, 0x0
	.amdhsa_kernel _ZN9rocsolver6v33100L12restore_diagIdidPKPdEEvPT1_llT2_lT0_lS8_
		.amdhsa_group_segment_fixed_size 0
		.amdhsa_private_segment_fixed_size 0
		.amdhsa_kernarg_size 320
		.amdhsa_user_sgpr_count 6
		.amdhsa_user_sgpr_private_segment_buffer 1
		.amdhsa_user_sgpr_dispatch_ptr 0
		.amdhsa_user_sgpr_queue_ptr 0
		.amdhsa_user_sgpr_kernarg_segment_ptr 1
		.amdhsa_user_sgpr_dispatch_id 0
		.amdhsa_user_sgpr_flat_scratch_init 0
		.amdhsa_user_sgpr_private_segment_size 0
		.amdhsa_uses_dynamic_stack 0
		.amdhsa_system_sgpr_private_segment_wavefront_offset 0
		.amdhsa_system_sgpr_workgroup_id_x 1
		.amdhsa_system_sgpr_workgroup_id_y 1
		.amdhsa_system_sgpr_workgroup_id_z 0
		.amdhsa_system_sgpr_workgroup_info 0
		.amdhsa_system_vgpr_workitem_id 1
		.amdhsa_next_free_vgpr 5
		.amdhsa_next_free_sgpr 17
		.amdhsa_reserve_vcc 1
		.amdhsa_reserve_flat_scratch 0
		.amdhsa_float_round_mode_32 0
		.amdhsa_float_round_mode_16_64 0
		.amdhsa_float_denorm_mode_32 3
		.amdhsa_float_denorm_mode_16_64 3
		.amdhsa_dx10_clamp 1
		.amdhsa_ieee_mode 1
		.amdhsa_fp16_overflow 0
		.amdhsa_exception_fp_ieee_invalid_op 0
		.amdhsa_exception_fp_denorm_src 0
		.amdhsa_exception_fp_ieee_div_zero 0
		.amdhsa_exception_fp_ieee_overflow 0
		.amdhsa_exception_fp_ieee_underflow 0
		.amdhsa_exception_fp_ieee_inexact 0
		.amdhsa_exception_int_div_zero 0
	.end_amdhsa_kernel
	.section	.text._ZN9rocsolver6v33100L12restore_diagIdidPKPdEEvPT1_llT2_lT0_lS8_,"axG",@progbits,_ZN9rocsolver6v33100L12restore_diagIdidPKPdEEvPT1_llT2_lT0_lS8_,comdat
.Lfunc_end25:
	.size	_ZN9rocsolver6v33100L12restore_diagIdidPKPdEEvPT1_llT2_lT0_lS8_, .Lfunc_end25-_ZN9rocsolver6v33100L12restore_diagIdidPKPdEEvPT1_llT2_lT0_lS8_
                                        ; -- End function
	.set _ZN9rocsolver6v33100L12restore_diagIdidPKPdEEvPT1_llT2_lT0_lS8_.num_vgpr, 5
	.set _ZN9rocsolver6v33100L12restore_diagIdidPKPdEEvPT1_llT2_lT0_lS8_.num_agpr, 0
	.set _ZN9rocsolver6v33100L12restore_diagIdidPKPdEEvPT1_llT2_lT0_lS8_.numbered_sgpr, 17
	.set _ZN9rocsolver6v33100L12restore_diagIdidPKPdEEvPT1_llT2_lT0_lS8_.num_named_barrier, 0
	.set _ZN9rocsolver6v33100L12restore_diagIdidPKPdEEvPT1_llT2_lT0_lS8_.private_seg_size, 0
	.set _ZN9rocsolver6v33100L12restore_diagIdidPKPdEEvPT1_llT2_lT0_lS8_.uses_vcc, 1
	.set _ZN9rocsolver6v33100L12restore_diagIdidPKPdEEvPT1_llT2_lT0_lS8_.uses_flat_scratch, 0
	.set _ZN9rocsolver6v33100L12restore_diagIdidPKPdEEvPT1_llT2_lT0_lS8_.has_dyn_sized_stack, 0
	.set _ZN9rocsolver6v33100L12restore_diagIdidPKPdEEvPT1_llT2_lT0_lS8_.has_recursion, 0
	.set _ZN9rocsolver6v33100L12restore_diagIdidPKPdEEvPT1_llT2_lT0_lS8_.has_indirect_call, 0
	.section	.AMDGPU.csdata,"",@progbits
; Kernel info:
; codeLenInByte = 240
; TotalNumSgprs: 21
; NumVgprs: 5
; ScratchSize: 0
; MemoryBound: 0
; FloatMode: 240
; IeeeMode: 1
; LDSByteSize: 0 bytes/workgroup (compile time only)
; SGPRBlocks: 2
; VGPRBlocks: 1
; NumSGPRsForWavesPerEU: 21
; NumVGPRsForWavesPerEU: 5
; Occupancy: 10
; WaveLimiterHint : 1
; COMPUTE_PGM_RSRC2:SCRATCH_EN: 0
; COMPUTE_PGM_RSRC2:USER_SGPR: 6
; COMPUTE_PGM_RSRC2:TRAP_HANDLER: 0
; COMPUTE_PGM_RSRC2:TGID_X_EN: 1
; COMPUTE_PGM_RSRC2:TGID_Y_EN: 1
; COMPUTE_PGM_RSRC2:TGID_Z_EN: 0
; COMPUTE_PGM_RSRC2:TIDIG_COMP_CNT: 1
	.section	.text._ZN9rocsolver6v33100L13larft_set_triIdPKPdEEv13rocblas_fill_iT0_iilPT_,"axG",@progbits,_ZN9rocsolver6v33100L13larft_set_triIdPKPdEEv13rocblas_fill_iT0_iilPT_,comdat
	.globl	_ZN9rocsolver6v33100L13larft_set_triIdPKPdEEv13rocblas_fill_iT0_iilPT_ ; -- Begin function _ZN9rocsolver6v33100L13larft_set_triIdPKPdEEv13rocblas_fill_iT0_iilPT_
	.p2align	8
	.type	_ZN9rocsolver6v33100L13larft_set_triIdPKPdEEv13rocblas_fill_iT0_iilPT_,@function
_ZN9rocsolver6v33100L13larft_set_triIdPKPdEEv13rocblas_fill_iT0_iilPT_: ; @_ZN9rocsolver6v33100L13larft_set_triIdPKPdEEv13rocblas_fill_iT0_iilPT_
; %bb.0:
	s_load_dword s2, s[4:5], 0x34
	s_load_dwordx2 s[0:1], s[4:5], 0x0
	s_waitcnt lgkmcnt(0)
	s_lshr_b32 s3, s2, 16
	s_and_b32 s2, s2, 0xffff
	s_mul_i32 s7, s7, s3
	s_mul_i32 s6, s6, s2
	v_add_u32_e32 v1, s7, v1
	v_add_u32_e32 v0, s6, v0
	v_max_u32_e32 v2, v1, v0
	v_cmp_gt_u32_e32 vcc, s1, v2
	s_and_saveexec_b64 s[2:3], vcc
	s_cbranch_execz .LBB26_3
; %bb.1:
	s_cmpk_lg_i32 s0, 0x7a
	s_cselect_b64 s[2:3], -1, 0
	s_cmpk_lg_i32 s0, 0x79
	s_cselect_b64 s[6:7], -1, 0
	v_cmp_lt_u32_e32 vcc, v1, v0
	s_or_b64 s[6:7], s[6:7], vcc
	v_cmp_lt_u32_e32 vcc, v0, v1
	s_or_b64 s[2:3], s[2:3], vcc
	s_and_b64 s[2:3], s[6:7], s[2:3]
	s_xor_b64 s[2:3], s[2:3], -1
	s_and_b64 exec, exec, s[2:3]
	s_cbranch_execz .LBB26_3
; %bb.2:
	s_load_dwordx4 s[12:15], s[4:5], 0x8
	s_load_dwordx2 s[2:3], s[4:5], 0x20
	s_mov_b32 s9, 0
	s_ashr_i32 s0, s1, 31
	s_lshl_b64 s[4:5], s[8:9], 3
	s_waitcnt lgkmcnt(0)
	s_ashr_i32 s7, s14, 31
	s_add_u32 s4, s12, s4
	s_addc_u32 s5, s13, s5
	s_load_dwordx2 s[4:5], s[4:5], 0x0
	v_mad_u64_u32 v[2:3], s[10:11], v1, s15, v[0:1]
	s_mov_b32 s6, s14
	s_lshl_b64 s[6:7], s[6:7], 3
	v_mov_b32_e32 v3, 0
	s_waitcnt lgkmcnt(0)
	s_add_u32 s4, s4, s6
	v_lshlrev_b64 v[4:5], 3, v[2:3]
	s_addc_u32 s5, s5, s7
	v_mov_b32_e32 v2, s5
	v_add_co_u32_e32 v4, vcc, s4, v4
	v_addc_co_u32_e32 v5, vcc, v2, v5, vcc
	flat_load_dwordx2 v[6:7], v[4:5]
	v_mad_u64_u32 v[8:9], s[4:5], v1, s1, v[0:1]
	s_mul_hi_u32 s6, s1, s8
	s_mul_i32 s7, s1, s8
	s_mul_i32 s4, s0, s8
	;; [unrolled: 1-line block ×3, first 2 shown]
	s_mul_hi_u32 s8, s7, s1
	s_add_i32 s4, s6, s4
	s_add_i32 s5, s8, s5
	s_mul_i32 s4, s4, s1
	s_mul_i32 s0, s7, s1
	s_add_i32 s1, s5, s4
	v_mov_b32_e32 v2, 0x3ff00000
	v_cmp_eq_u32_e32 vcc, v0, v1
	v_mov_b32_e32 v9, v3
	s_lshl_b64 s[0:1], s[0:1], 3
	v_cndmask_b32_e32 v1, 0, v2, vcc
	v_mov_b32_e32 v0, v3
	v_lshlrev_b64 v[2:3], 3, v[8:9]
	s_add_u32 s0, s2, s0
	s_addc_u32 s1, s3, s1
	v_mov_b32_e32 v8, s1
	v_add_co_u32_e32 v2, vcc, s0, v2
	v_addc_co_u32_e32 v3, vcc, v8, v3, vcc
	s_waitcnt vmcnt(0) lgkmcnt(0)
	global_store_dwordx2 v[2:3], v[6:7], off
	flat_store_dwordx2 v[4:5], v[0:1]
.LBB26_3:
	s_endpgm
	.section	.rodata,"a",@progbits
	.p2align	6, 0x0
	.amdhsa_kernel _ZN9rocsolver6v33100L13larft_set_triIdPKPdEEv13rocblas_fill_iT0_iilPT_
		.amdhsa_group_segment_fixed_size 0
		.amdhsa_private_segment_fixed_size 0
		.amdhsa_kernarg_size 296
		.amdhsa_user_sgpr_count 6
		.amdhsa_user_sgpr_private_segment_buffer 1
		.amdhsa_user_sgpr_dispatch_ptr 0
		.amdhsa_user_sgpr_queue_ptr 0
		.amdhsa_user_sgpr_kernarg_segment_ptr 1
		.amdhsa_user_sgpr_dispatch_id 0
		.amdhsa_user_sgpr_flat_scratch_init 0
		.amdhsa_user_sgpr_private_segment_size 0
		.amdhsa_uses_dynamic_stack 0
		.amdhsa_system_sgpr_private_segment_wavefront_offset 0
		.amdhsa_system_sgpr_workgroup_id_x 1
		.amdhsa_system_sgpr_workgroup_id_y 1
		.amdhsa_system_sgpr_workgroup_id_z 1
		.amdhsa_system_sgpr_workgroup_info 0
		.amdhsa_system_vgpr_workitem_id 1
		.amdhsa_next_free_vgpr 10
		.amdhsa_next_free_sgpr 16
		.amdhsa_reserve_vcc 1
		.amdhsa_reserve_flat_scratch 0
		.amdhsa_float_round_mode_32 0
		.amdhsa_float_round_mode_16_64 0
		.amdhsa_float_denorm_mode_32 3
		.amdhsa_float_denorm_mode_16_64 3
		.amdhsa_dx10_clamp 1
		.amdhsa_ieee_mode 1
		.amdhsa_fp16_overflow 0
		.amdhsa_exception_fp_ieee_invalid_op 0
		.amdhsa_exception_fp_denorm_src 0
		.amdhsa_exception_fp_ieee_div_zero 0
		.amdhsa_exception_fp_ieee_overflow 0
		.amdhsa_exception_fp_ieee_underflow 0
		.amdhsa_exception_fp_ieee_inexact 0
		.amdhsa_exception_int_div_zero 0
	.end_amdhsa_kernel
	.section	.text._ZN9rocsolver6v33100L13larft_set_triIdPKPdEEv13rocblas_fill_iT0_iilPT_,"axG",@progbits,_ZN9rocsolver6v33100L13larft_set_triIdPKPdEEv13rocblas_fill_iT0_iilPT_,comdat
.Lfunc_end26:
	.size	_ZN9rocsolver6v33100L13larft_set_triIdPKPdEEv13rocblas_fill_iT0_iilPT_, .Lfunc_end26-_ZN9rocsolver6v33100L13larft_set_triIdPKPdEEv13rocblas_fill_iT0_iilPT_
                                        ; -- End function
	.set _ZN9rocsolver6v33100L13larft_set_triIdPKPdEEv13rocblas_fill_iT0_iilPT_.num_vgpr, 10
	.set _ZN9rocsolver6v33100L13larft_set_triIdPKPdEEv13rocblas_fill_iT0_iilPT_.num_agpr, 0
	.set _ZN9rocsolver6v33100L13larft_set_triIdPKPdEEv13rocblas_fill_iT0_iilPT_.numbered_sgpr, 16
	.set _ZN9rocsolver6v33100L13larft_set_triIdPKPdEEv13rocblas_fill_iT0_iilPT_.num_named_barrier, 0
	.set _ZN9rocsolver6v33100L13larft_set_triIdPKPdEEv13rocblas_fill_iT0_iilPT_.private_seg_size, 0
	.set _ZN9rocsolver6v33100L13larft_set_triIdPKPdEEv13rocblas_fill_iT0_iilPT_.uses_vcc, 1
	.set _ZN9rocsolver6v33100L13larft_set_triIdPKPdEEv13rocblas_fill_iT0_iilPT_.uses_flat_scratch, 0
	.set _ZN9rocsolver6v33100L13larft_set_triIdPKPdEEv13rocblas_fill_iT0_iilPT_.has_dyn_sized_stack, 0
	.set _ZN9rocsolver6v33100L13larft_set_triIdPKPdEEv13rocblas_fill_iT0_iilPT_.has_recursion, 0
	.set _ZN9rocsolver6v33100L13larft_set_triIdPKPdEEv13rocblas_fill_iT0_iilPT_.has_indirect_call, 0
	.section	.AMDGPU.csdata,"",@progbits
; Kernel info:
; codeLenInByte = 352
; TotalNumSgprs: 20
; NumVgprs: 10
; ScratchSize: 0
; MemoryBound: 0
; FloatMode: 240
; IeeeMode: 1
; LDSByteSize: 0 bytes/workgroup (compile time only)
; SGPRBlocks: 2
; VGPRBlocks: 2
; NumSGPRsForWavesPerEU: 20
; NumVGPRsForWavesPerEU: 10
; Occupancy: 10
; WaveLimiterHint : 1
; COMPUTE_PGM_RSRC2:SCRATCH_EN: 0
; COMPUTE_PGM_RSRC2:USER_SGPR: 6
; COMPUTE_PGM_RSRC2:TRAP_HANDLER: 0
; COMPUTE_PGM_RSRC2:TGID_X_EN: 1
; COMPUTE_PGM_RSRC2:TGID_Y_EN: 1
; COMPUTE_PGM_RSRC2:TGID_Z_EN: 1
; COMPUTE_PGM_RSRC2:TIDIG_COMP_CNT: 1
	.section	.text._ZN9rocsolver6v33100L14larft_set_diagIdEEviPT_lS3_il,"axG",@progbits,_ZN9rocsolver6v33100L14larft_set_diagIdEEviPT_lS3_il,comdat
	.globl	_ZN9rocsolver6v33100L14larft_set_diagIdEEviPT_lS3_il ; -- Begin function _ZN9rocsolver6v33100L14larft_set_diagIdEEviPT_lS3_il
	.p2align	8
	.type	_ZN9rocsolver6v33100L14larft_set_diagIdEEviPT_lS3_il,@function
_ZN9rocsolver6v33100L14larft_set_diagIdEEviPT_lS3_il: ; @_ZN9rocsolver6v33100L14larft_set_diagIdEEviPT_lS3_il
; %bb.0:
	s_load_dword s0, s[4:5], 0x3c
	s_load_dword s1, s[4:5], 0x0
	s_waitcnt lgkmcnt(0)
	s_and_b32 s0, s0, 0xffff
	s_mul_i32 s6, s6, s0
	v_add_u32_e32 v0, s6, v0
	v_cmp_gt_u32_e32 vcc, s1, v0
	s_and_saveexec_b64 s[0:1], vcc
	s_cbranch_execz .LBB27_2
; %bb.1:
	s_load_dwordx4 s[0:3], s[4:5], 0x8
	s_load_dwordx2 s[8:9], s[4:5], 0x18
	v_mov_b32_e32 v1, 0
	v_lshlrev_b64 v[2:3], 3, v[0:1]
	s_waitcnt lgkmcnt(0)
	s_mul_i32 s3, s3, s7
	s_mul_hi_u32 s6, s2, s7
	s_mul_i32 s2, s2, s7
	s_add_i32 s3, s6, s3
	s_lshl_b64 s[2:3], s[2:3], 3
	s_add_u32 s0, s0, s2
	s_addc_u32 s1, s1, s3
	v_mov_b32_e32 v4, s1
	v_add_co_u32_e32 v2, vcc, s0, v2
	v_addc_co_u32_e32 v3, vcc, v4, v3, vcc
	global_load_dwordx2 v[2:3], v[2:3], off
	s_waitcnt vmcnt(0)
	v_div_scale_f64 v[4:5], s[0:1], v[2:3], v[2:3], 1.0
	v_div_scale_f64 v[10:11], vcc, 1.0, v[2:3], 1.0
	s_load_dwordx2 s[0:1], s[4:5], 0x28
	s_load_dword s2, s[4:5], 0x20
	s_waitcnt lgkmcnt(0)
	s_mul_i32 s1, s1, s7
	s_mul_hi_u32 s3, s0, s7
	s_add_i32 s1, s3, s1
	s_mul_i32 s0, s0, s7
	s_lshl_b64 s[0:1], s[0:1], 3
	s_add_u32 s0, s8, s0
	s_addc_u32 s1, s9, s1
	v_rcp_f64_e32 v[6:7], v[4:5]
	v_fma_f64 v[8:9], -v[4:5], v[6:7], 1.0
	v_fma_f64 v[6:7], v[6:7], v[8:9], v[6:7]
	v_fma_f64 v[8:9], -v[4:5], v[6:7], 1.0
	v_fma_f64 v[6:7], v[6:7], v[8:9], v[6:7]
	v_mul_f64 v[8:9], v[10:11], v[6:7]
	v_fma_f64 v[4:5], -v[4:5], v[8:9], v[10:11]
	v_div_fmas_f64 v[4:5], v[4:5], v[6:7], v[8:9]
	v_mad_u64_u32 v[6:7], s[2:3], v0, s2, v[0:1]
	v_mov_b32_e32 v7, v1
	v_lshlrev_b64 v[0:1], 3, v[6:7]
	v_add_co_u32_e32 v0, vcc, s0, v0
	v_div_fixup_f64 v[2:3], v[4:5], v[2:3], 1.0
	v_mov_b32_e32 v4, s1
	v_addc_co_u32_e32 v1, vcc, v4, v1, vcc
	global_store_dwordx2 v[0:1], v[2:3], off
.LBB27_2:
	s_endpgm
	.section	.rodata,"a",@progbits
	.p2align	6, 0x0
	.amdhsa_kernel _ZN9rocsolver6v33100L14larft_set_diagIdEEviPT_lS3_il
		.amdhsa_group_segment_fixed_size 0
		.amdhsa_private_segment_fixed_size 0
		.amdhsa_kernarg_size 304
		.amdhsa_user_sgpr_count 6
		.amdhsa_user_sgpr_private_segment_buffer 1
		.amdhsa_user_sgpr_dispatch_ptr 0
		.amdhsa_user_sgpr_queue_ptr 0
		.amdhsa_user_sgpr_kernarg_segment_ptr 1
		.amdhsa_user_sgpr_dispatch_id 0
		.amdhsa_user_sgpr_flat_scratch_init 0
		.amdhsa_user_sgpr_private_segment_size 0
		.amdhsa_uses_dynamic_stack 0
		.amdhsa_system_sgpr_private_segment_wavefront_offset 0
		.amdhsa_system_sgpr_workgroup_id_x 1
		.amdhsa_system_sgpr_workgroup_id_y 0
		.amdhsa_system_sgpr_workgroup_id_z 1
		.amdhsa_system_sgpr_workgroup_info 0
		.amdhsa_system_vgpr_workitem_id 0
		.amdhsa_next_free_vgpr 12
		.amdhsa_next_free_sgpr 10
		.amdhsa_reserve_vcc 1
		.amdhsa_reserve_flat_scratch 0
		.amdhsa_float_round_mode_32 0
		.amdhsa_float_round_mode_16_64 0
		.amdhsa_float_denorm_mode_32 3
		.amdhsa_float_denorm_mode_16_64 3
		.amdhsa_dx10_clamp 1
		.amdhsa_ieee_mode 1
		.amdhsa_fp16_overflow 0
		.amdhsa_exception_fp_ieee_invalid_op 0
		.amdhsa_exception_fp_denorm_src 0
		.amdhsa_exception_fp_ieee_div_zero 0
		.amdhsa_exception_fp_ieee_overflow 0
		.amdhsa_exception_fp_ieee_underflow 0
		.amdhsa_exception_fp_ieee_inexact 0
		.amdhsa_exception_int_div_zero 0
	.end_amdhsa_kernel
	.section	.text._ZN9rocsolver6v33100L14larft_set_diagIdEEviPT_lS3_il,"axG",@progbits,_ZN9rocsolver6v33100L14larft_set_diagIdEEviPT_lS3_il,comdat
.Lfunc_end27:
	.size	_ZN9rocsolver6v33100L14larft_set_diagIdEEviPT_lS3_il, .Lfunc_end27-_ZN9rocsolver6v33100L14larft_set_diagIdEEviPT_lS3_il
                                        ; -- End function
	.set _ZN9rocsolver6v33100L14larft_set_diagIdEEviPT_lS3_il.num_vgpr, 12
	.set _ZN9rocsolver6v33100L14larft_set_diagIdEEviPT_lS3_il.num_agpr, 0
	.set _ZN9rocsolver6v33100L14larft_set_diagIdEEviPT_lS3_il.numbered_sgpr, 10
	.set _ZN9rocsolver6v33100L14larft_set_diagIdEEviPT_lS3_il.num_named_barrier, 0
	.set _ZN9rocsolver6v33100L14larft_set_diagIdEEviPT_lS3_il.private_seg_size, 0
	.set _ZN9rocsolver6v33100L14larft_set_diagIdEEviPT_lS3_il.uses_vcc, 1
	.set _ZN9rocsolver6v33100L14larft_set_diagIdEEviPT_lS3_il.uses_flat_scratch, 0
	.set _ZN9rocsolver6v33100L14larft_set_diagIdEEviPT_lS3_il.has_dyn_sized_stack, 0
	.set _ZN9rocsolver6v33100L14larft_set_diagIdEEviPT_lS3_il.has_recursion, 0
	.set _ZN9rocsolver6v33100L14larft_set_diagIdEEviPT_lS3_il.has_indirect_call, 0
	.section	.AMDGPU.csdata,"",@progbits
; Kernel info:
; codeLenInByte = 308
; TotalNumSgprs: 14
; NumVgprs: 12
; ScratchSize: 0
; MemoryBound: 0
; FloatMode: 240
; IeeeMode: 1
; LDSByteSize: 0 bytes/workgroup (compile time only)
; SGPRBlocks: 1
; VGPRBlocks: 2
; NumSGPRsForWavesPerEU: 14
; NumVGPRsForWavesPerEU: 12
; Occupancy: 10
; WaveLimiterHint : 0
; COMPUTE_PGM_RSRC2:SCRATCH_EN: 0
; COMPUTE_PGM_RSRC2:USER_SGPR: 6
; COMPUTE_PGM_RSRC2:TRAP_HANDLER: 0
; COMPUTE_PGM_RSRC2:TGID_X_EN: 1
; COMPUTE_PGM_RSRC2:TGID_Y_EN: 0
; COMPUTE_PGM_RSRC2:TGID_Z_EN: 1
; COMPUTE_PGM_RSRC2:TIDIG_COMP_CNT: 0
	.section	.text._ZN9rocsolver6v33100L17larft_restore_triIdPKPdEEv13rocblas_fill_iT0_iilPT_,"axG",@progbits,_ZN9rocsolver6v33100L17larft_restore_triIdPKPdEEv13rocblas_fill_iT0_iilPT_,comdat
	.globl	_ZN9rocsolver6v33100L17larft_restore_triIdPKPdEEv13rocblas_fill_iT0_iilPT_ ; -- Begin function _ZN9rocsolver6v33100L17larft_restore_triIdPKPdEEv13rocblas_fill_iT0_iilPT_
	.p2align	8
	.type	_ZN9rocsolver6v33100L17larft_restore_triIdPKPdEEv13rocblas_fill_iT0_iilPT_,@function
_ZN9rocsolver6v33100L17larft_restore_triIdPKPdEEv13rocblas_fill_iT0_iilPT_: ; @_ZN9rocsolver6v33100L17larft_restore_triIdPKPdEEv13rocblas_fill_iT0_iilPT_
; %bb.0:
	s_load_dword s0, s[4:5], 0x34
	s_load_dwordx2 s[10:11], s[4:5], 0x0
	s_waitcnt lgkmcnt(0)
	s_lshr_b32 s1, s0, 16
	s_and_b32 s0, s0, 0xffff
	s_mul_i32 s7, s7, s1
	s_mul_i32 s6, s6, s0
	v_add_u32_e32 v1, s7, v1
	v_add_u32_e32 v0, s6, v0
	v_max_u32_e32 v2, v1, v0
	v_cmp_gt_u32_e32 vcc, s11, v2
	s_and_saveexec_b64 s[0:1], vcc
	s_cbranch_execz .LBB28_3
; %bb.1:
	s_cmpk_lg_i32 s10, 0x7a
	s_cselect_b64 s[0:1], -1, 0
	s_cmpk_lg_i32 s10, 0x79
	s_cselect_b64 s[2:3], -1, 0
	v_cmp_lt_u32_e32 vcc, v1, v0
	s_or_b64 s[2:3], s[2:3], vcc
	v_cmp_lt_u32_e32 vcc, v0, v1
	s_or_b64 s[0:1], s[0:1], vcc
	s_and_b64 s[0:1], s[2:3], s[0:1]
	s_xor_b64 s[0:1], s[0:1], -1
	s_and_b64 exec, exec, s[0:1]
	s_cbranch_execz .LBB28_3
; %bb.2:
	s_load_dwordx4 s[0:3], s[4:5], 0x8
	s_load_dwordx2 s[6:7], s[4:5], 0x20
	s_mov_b32 s9, 0
	s_ashr_i32 s10, s11, 31
	s_lshl_b64 s[4:5], s[8:9], 3
	s_waitcnt lgkmcnt(0)
	s_ashr_i32 s13, s2, 31
	s_add_u32 s0, s0, s4
	s_addc_u32 s1, s1, s5
	s_load_dwordx2 s[0:1], s[0:1], 0x0
	s_mov_b32 s12, s2
	s_lshl_b64 s[4:5], s[12:13], 3
	s_mul_hi_u32 s9, s11, s8
	s_mul_i32 s14, s10, s8
	s_waitcnt lgkmcnt(0)
	s_add_u32 s2, s0, s4
	s_mul_i32 s4, s11, s8
	s_addc_u32 s12, s1, s5
	s_add_i32 s0, s9, s14
	s_mul_i32 s1, s4, s10
	s_mul_hi_u32 s5, s4, s11
	s_add_i32 s1, s5, s1
	s_mul_i32 s0, s0, s11
	s_add_i32 s1, s1, s0
	s_mul_i32 s0, s4, s11
	v_mad_u64_u32 v[2:3], s[4:5], v1, s11, v[0:1]
	s_lshl_b64 s[0:1], s[0:1], 3
	v_mov_b32_e32 v3, 0
	s_add_u32 s0, s6, s0
	v_lshlrev_b64 v[4:5], 3, v[2:3]
	s_addc_u32 s1, s7, s1
	v_mov_b32_e32 v2, s1
	v_add_co_u32_e32 v4, vcc, s0, v4
	v_addc_co_u32_e32 v5, vcc, v2, v5, vcc
	global_load_dwordx2 v[4:5], v[4:5], off
	v_mad_u64_u32 v[0:1], s[0:1], v1, s3, v[0:1]
	v_mov_b32_e32 v1, v3
	v_mov_b32_e32 v2, s12
	v_lshlrev_b64 v[0:1], 3, v[0:1]
	v_add_co_u32_e32 v0, vcc, s2, v0
	v_addc_co_u32_e32 v1, vcc, v2, v1, vcc
	s_waitcnt vmcnt(0)
	flat_store_dwordx2 v[0:1], v[4:5]
.LBB28_3:
	s_endpgm
	.section	.rodata,"a",@progbits
	.p2align	6, 0x0
	.amdhsa_kernel _ZN9rocsolver6v33100L17larft_restore_triIdPKPdEEv13rocblas_fill_iT0_iilPT_
		.amdhsa_group_segment_fixed_size 0
		.amdhsa_private_segment_fixed_size 0
		.amdhsa_kernarg_size 296
		.amdhsa_user_sgpr_count 6
		.amdhsa_user_sgpr_private_segment_buffer 1
		.amdhsa_user_sgpr_dispatch_ptr 0
		.amdhsa_user_sgpr_queue_ptr 0
		.amdhsa_user_sgpr_kernarg_segment_ptr 1
		.amdhsa_user_sgpr_dispatch_id 0
		.amdhsa_user_sgpr_flat_scratch_init 0
		.amdhsa_user_sgpr_private_segment_size 0
		.amdhsa_uses_dynamic_stack 0
		.amdhsa_system_sgpr_private_segment_wavefront_offset 0
		.amdhsa_system_sgpr_workgroup_id_x 1
		.amdhsa_system_sgpr_workgroup_id_y 1
		.amdhsa_system_sgpr_workgroup_id_z 1
		.amdhsa_system_sgpr_workgroup_info 0
		.amdhsa_system_vgpr_workitem_id 1
		.amdhsa_next_free_vgpr 6
		.amdhsa_next_free_sgpr 15
		.amdhsa_reserve_vcc 1
		.amdhsa_reserve_flat_scratch 0
		.amdhsa_float_round_mode_32 0
		.amdhsa_float_round_mode_16_64 0
		.amdhsa_float_denorm_mode_32 3
		.amdhsa_float_denorm_mode_16_64 3
		.amdhsa_dx10_clamp 1
		.amdhsa_ieee_mode 1
		.amdhsa_fp16_overflow 0
		.amdhsa_exception_fp_ieee_invalid_op 0
		.amdhsa_exception_fp_denorm_src 0
		.amdhsa_exception_fp_ieee_div_zero 0
		.amdhsa_exception_fp_ieee_overflow 0
		.amdhsa_exception_fp_ieee_underflow 0
		.amdhsa_exception_fp_ieee_inexact 0
		.amdhsa_exception_int_div_zero 0
	.end_amdhsa_kernel
	.section	.text._ZN9rocsolver6v33100L17larft_restore_triIdPKPdEEv13rocblas_fill_iT0_iilPT_,"axG",@progbits,_ZN9rocsolver6v33100L17larft_restore_triIdPKPdEEv13rocblas_fill_iT0_iilPT_,comdat
.Lfunc_end28:
	.size	_ZN9rocsolver6v33100L17larft_restore_triIdPKPdEEv13rocblas_fill_iT0_iilPT_, .Lfunc_end28-_ZN9rocsolver6v33100L17larft_restore_triIdPKPdEEv13rocblas_fill_iT0_iilPT_
                                        ; -- End function
	.set _ZN9rocsolver6v33100L17larft_restore_triIdPKPdEEv13rocblas_fill_iT0_iilPT_.num_vgpr, 6
	.set _ZN9rocsolver6v33100L17larft_restore_triIdPKPdEEv13rocblas_fill_iT0_iilPT_.num_agpr, 0
	.set _ZN9rocsolver6v33100L17larft_restore_triIdPKPdEEv13rocblas_fill_iT0_iilPT_.numbered_sgpr, 15
	.set _ZN9rocsolver6v33100L17larft_restore_triIdPKPdEEv13rocblas_fill_iT0_iilPT_.num_named_barrier, 0
	.set _ZN9rocsolver6v33100L17larft_restore_triIdPKPdEEv13rocblas_fill_iT0_iilPT_.private_seg_size, 0
	.set _ZN9rocsolver6v33100L17larft_restore_triIdPKPdEEv13rocblas_fill_iT0_iilPT_.uses_vcc, 1
	.set _ZN9rocsolver6v33100L17larft_restore_triIdPKPdEEv13rocblas_fill_iT0_iilPT_.uses_flat_scratch, 0
	.set _ZN9rocsolver6v33100L17larft_restore_triIdPKPdEEv13rocblas_fill_iT0_iilPT_.has_dyn_sized_stack, 0
	.set _ZN9rocsolver6v33100L17larft_restore_triIdPKPdEEv13rocblas_fill_iT0_iilPT_.has_recursion, 0
	.set _ZN9rocsolver6v33100L17larft_restore_triIdPKPdEEv13rocblas_fill_iT0_iilPT_.has_indirect_call, 0
	.section	.AMDGPU.csdata,"",@progbits
; Kernel info:
; codeLenInByte = 324
; TotalNumSgprs: 19
; NumVgprs: 6
; ScratchSize: 0
; MemoryBound: 0
; FloatMode: 240
; IeeeMode: 1
; LDSByteSize: 0 bytes/workgroup (compile time only)
; SGPRBlocks: 2
; VGPRBlocks: 1
; NumSGPRsForWavesPerEU: 19
; NumVGPRsForWavesPerEU: 6
; Occupancy: 10
; WaveLimiterHint : 1
; COMPUTE_PGM_RSRC2:SCRATCH_EN: 0
; COMPUTE_PGM_RSRC2:USER_SGPR: 6
; COMPUTE_PGM_RSRC2:TRAP_HANDLER: 0
; COMPUTE_PGM_RSRC2:TGID_X_EN: 1
; COMPUTE_PGM_RSRC2:TGID_Y_EN: 1
; COMPUTE_PGM_RSRC2:TGID_Z_EN: 1
; COMPUTE_PGM_RSRC2:TIDIG_COMP_CNT: 1
	.section	.text._ZN9rocsolver6v33100L9copymatA1IdPKPdEEviiT0_iilPT_,"axG",@progbits,_ZN9rocsolver6v33100L9copymatA1IdPKPdEEviiT0_iilPT_,comdat
	.globl	_ZN9rocsolver6v33100L9copymatA1IdPKPdEEviiT0_iilPT_ ; -- Begin function _ZN9rocsolver6v33100L9copymatA1IdPKPdEEviiT0_iilPT_
	.p2align	8
	.type	_ZN9rocsolver6v33100L9copymatA1IdPKPdEEviiT0_iilPT_,@function
_ZN9rocsolver6v33100L9copymatA1IdPKPdEEviiT0_iilPT_: ; @_ZN9rocsolver6v33100L9copymatA1IdPKPdEEviiT0_iilPT_
; %bb.0:
	s_load_dword s0, s[4:5], 0x34
	s_load_dwordx2 s[2:3], s[4:5], 0x0
	s_waitcnt lgkmcnt(0)
	s_lshr_b32 s1, s0, 16
	s_and_b32 s0, s0, 0xffff
	s_mul_i32 s6, s6, s0
	s_mul_i32 s7, s7, s1
	v_add_u32_e32 v2, s6, v0
	v_add_u32_e32 v0, s7, v1
	v_cmp_gt_u32_e32 vcc, s2, v0
	v_cmp_gt_u32_e64 s[0:1], s3, v2
	s_and_b64 s[0:1], s[0:1], vcc
	s_and_saveexec_b64 s[6:7], s[0:1]
	s_cbranch_execz .LBB29_2
; %bb.1:
	s_load_dwordx4 s[12:15], s[4:5], 0x8
	s_load_dwordx2 s[0:1], s[4:5], 0x20
	s_ashr_i32 s4, s2, 31
	s_mul_hi_u32 s6, s2, s8
	s_mul_i32 s4, s4, s8
	s_ashr_i32 s5, s3, 31
	s_add_i32 s4, s6, s4
	s_mul_i32 s6, s2, s8
	s_mul_i32 s5, s6, s5
	s_mul_hi_u32 s7, s6, s3
	s_add_i32 s5, s7, s5
	s_mul_i32 s4, s4, s3
	s_add_i32 s5, s5, s4
	s_mul_i32 s4, s6, s3
	s_lshl_b64 s[4:5], s[4:5], 3
	s_mov_b32 s9, 0
	s_waitcnt lgkmcnt(0)
	s_add_u32 s3, s0, s4
	s_addc_u32 s10, s1, s5
	s_ashr_i32 s1, s14, 31
	s_lshl_b64 s[4:5], s[8:9], 3
	s_add_u32 s4, s12, s4
	s_addc_u32 s5, s13, s5
	s_load_dwordx2 s[4:5], s[4:5], 0x0
	v_mad_u64_u32 v[3:4], s[6:7], v2, s15, v[0:1]
	s_mov_b32 s0, s14
	s_lshl_b64 s[0:1], s[0:1], 3
	v_mov_b32_e32 v4, 0
	s_waitcnt lgkmcnt(0)
	s_add_u32 s0, s4, s0
	v_lshlrev_b64 v[5:6], 3, v[3:4]
	s_addc_u32 s1, s5, s1
	v_mov_b32_e32 v1, s1
	v_add_co_u32_e32 v5, vcc, s0, v5
	v_addc_co_u32_e32 v6, vcc, v1, v6, vcc
	flat_load_dwordx2 v[5:6], v[5:6]
	v_mad_u64_u32 v[0:1], s[0:1], v2, s2, v[0:1]
	v_mov_b32_e32 v1, v4
	v_mov_b32_e32 v2, s10
	v_lshlrev_b64 v[0:1], 3, v[0:1]
	v_add_co_u32_e32 v0, vcc, s3, v0
	v_addc_co_u32_e32 v1, vcc, v2, v1, vcc
	s_waitcnt vmcnt(0) lgkmcnt(0)
	global_store_dwordx2 v[0:1], v[5:6], off
.LBB29_2:
	s_endpgm
	.section	.rodata,"a",@progbits
	.p2align	6, 0x0
	.amdhsa_kernel _ZN9rocsolver6v33100L9copymatA1IdPKPdEEviiT0_iilPT_
		.amdhsa_group_segment_fixed_size 0
		.amdhsa_private_segment_fixed_size 0
		.amdhsa_kernarg_size 296
		.amdhsa_user_sgpr_count 6
		.amdhsa_user_sgpr_private_segment_buffer 1
		.amdhsa_user_sgpr_dispatch_ptr 0
		.amdhsa_user_sgpr_queue_ptr 0
		.amdhsa_user_sgpr_kernarg_segment_ptr 1
		.amdhsa_user_sgpr_dispatch_id 0
		.amdhsa_user_sgpr_flat_scratch_init 0
		.amdhsa_user_sgpr_private_segment_size 0
		.amdhsa_uses_dynamic_stack 0
		.amdhsa_system_sgpr_private_segment_wavefront_offset 0
		.amdhsa_system_sgpr_workgroup_id_x 1
		.amdhsa_system_sgpr_workgroup_id_y 1
		.amdhsa_system_sgpr_workgroup_id_z 1
		.amdhsa_system_sgpr_workgroup_info 0
		.amdhsa_system_vgpr_workitem_id 1
		.amdhsa_next_free_vgpr 7
		.amdhsa_next_free_sgpr 16
		.amdhsa_reserve_vcc 1
		.amdhsa_reserve_flat_scratch 0
		.amdhsa_float_round_mode_32 0
		.amdhsa_float_round_mode_16_64 0
		.amdhsa_float_denorm_mode_32 3
		.amdhsa_float_denorm_mode_16_64 3
		.amdhsa_dx10_clamp 1
		.amdhsa_ieee_mode 1
		.amdhsa_fp16_overflow 0
		.amdhsa_exception_fp_ieee_invalid_op 0
		.amdhsa_exception_fp_denorm_src 0
		.amdhsa_exception_fp_ieee_div_zero 0
		.amdhsa_exception_fp_ieee_overflow 0
		.amdhsa_exception_fp_ieee_underflow 0
		.amdhsa_exception_fp_ieee_inexact 0
		.amdhsa_exception_int_div_zero 0
	.end_amdhsa_kernel
	.section	.text._ZN9rocsolver6v33100L9copymatA1IdPKPdEEviiT0_iilPT_,"axG",@progbits,_ZN9rocsolver6v33100L9copymatA1IdPKPdEEviiT0_iilPT_,comdat
.Lfunc_end29:
	.size	_ZN9rocsolver6v33100L9copymatA1IdPKPdEEviiT0_iilPT_, .Lfunc_end29-_ZN9rocsolver6v33100L9copymatA1IdPKPdEEviiT0_iilPT_
                                        ; -- End function
	.set _ZN9rocsolver6v33100L9copymatA1IdPKPdEEviiT0_iilPT_.num_vgpr, 7
	.set _ZN9rocsolver6v33100L9copymatA1IdPKPdEEviiT0_iilPT_.num_agpr, 0
	.set _ZN9rocsolver6v33100L9copymatA1IdPKPdEEviiT0_iilPT_.numbered_sgpr, 16
	.set _ZN9rocsolver6v33100L9copymatA1IdPKPdEEviiT0_iilPT_.num_named_barrier, 0
	.set _ZN9rocsolver6v33100L9copymatA1IdPKPdEEviiT0_iilPT_.private_seg_size, 0
	.set _ZN9rocsolver6v33100L9copymatA1IdPKPdEEviiT0_iilPT_.uses_vcc, 1
	.set _ZN9rocsolver6v33100L9copymatA1IdPKPdEEviiT0_iilPT_.uses_flat_scratch, 0
	.set _ZN9rocsolver6v33100L9copymatA1IdPKPdEEviiT0_iilPT_.has_dyn_sized_stack, 0
	.set _ZN9rocsolver6v33100L9copymatA1IdPKPdEEviiT0_iilPT_.has_recursion, 0
	.set _ZN9rocsolver6v33100L9copymatA1IdPKPdEEviiT0_iilPT_.has_indirect_call, 0
	.section	.AMDGPU.csdata,"",@progbits
; Kernel info:
; codeLenInByte = 288
; TotalNumSgprs: 20
; NumVgprs: 7
; ScratchSize: 0
; MemoryBound: 0
; FloatMode: 240
; IeeeMode: 1
; LDSByteSize: 0 bytes/workgroup (compile time only)
; SGPRBlocks: 2
; VGPRBlocks: 1
; NumSGPRsForWavesPerEU: 20
; NumVGPRsForWavesPerEU: 7
; Occupancy: 10
; WaveLimiterHint : 1
; COMPUTE_PGM_RSRC2:SCRATCH_EN: 0
; COMPUTE_PGM_RSRC2:USER_SGPR: 6
; COMPUTE_PGM_RSRC2:TRAP_HANDLER: 0
; COMPUTE_PGM_RSRC2:TGID_X_EN: 1
; COMPUTE_PGM_RSRC2:TGID_Y_EN: 1
; COMPUTE_PGM_RSRC2:TGID_Z_EN: 1
; COMPUTE_PGM_RSRC2:TIDIG_COMP_CNT: 1
	.section	.text._ZN9rocsolver6v33100L8addmatA1IdPKPdEEviiT0_iilPT_,"axG",@progbits,_ZN9rocsolver6v33100L8addmatA1IdPKPdEEviiT0_iilPT_,comdat
	.globl	_ZN9rocsolver6v33100L8addmatA1IdPKPdEEviiT0_iilPT_ ; -- Begin function _ZN9rocsolver6v33100L8addmatA1IdPKPdEEviiT0_iilPT_
	.p2align	8
	.type	_ZN9rocsolver6v33100L8addmatA1IdPKPdEEviiT0_iilPT_,@function
_ZN9rocsolver6v33100L8addmatA1IdPKPdEEviiT0_iilPT_: ; @_ZN9rocsolver6v33100L8addmatA1IdPKPdEEviiT0_iilPT_
; %bb.0:
	s_load_dword s0, s[4:5], 0x34
	s_load_dwordx2 s[10:11], s[4:5], 0x0
	s_waitcnt lgkmcnt(0)
	s_lshr_b32 s1, s0, 16
	s_and_b32 s0, s0, 0xffff
	s_mul_i32 s6, s6, s0
	s_mul_i32 s7, s7, s1
	v_add_u32_e32 v2, s6, v0
	v_add_u32_e32 v0, s7, v1
	v_cmp_gt_u32_e32 vcc, s10, v0
	v_cmp_gt_u32_e64 s[0:1], s11, v2
	s_and_b64 s[0:1], s[0:1], vcc
	s_and_saveexec_b64 s[2:3], s[0:1]
	s_cbranch_execz .LBB30_2
; %bb.1:
	s_load_dwordx4 s[0:3], s[4:5], 0x8
	s_load_dwordx2 s[6:7], s[4:5], 0x20
	s_ashr_i32 s4, s10, 31
	s_mul_hi_u32 s12, s10, s8
	s_mul_i32 s4, s4, s8
	s_ashr_i32 s5, s11, 31
	s_add_i32 s4, s12, s4
	s_mul_i32 s12, s10, s8
	s_mul_i32 s5, s12, s5
	s_mul_hi_u32 s13, s12, s11
	s_add_i32 s5, s13, s5
	s_mul_i32 s4, s4, s11
	s_add_i32 s5, s5, s4
	s_mul_i32 s4, s12, s11
	s_lshl_b64 s[4:5], s[4:5], 3
	s_mov_b32 s9, 0
	s_waitcnt lgkmcnt(0)
	s_add_u32 s11, s6, s4
	s_addc_u32 s12, s7, s5
	s_ashr_i32 s5, s2, 31
	s_lshl_b64 s[6:7], s[8:9], 3
	s_add_u32 s0, s0, s6
	s_addc_u32 s1, s1, s7
	s_load_dwordx2 s[0:1], s[0:1], 0x0
	v_mad_u64_u32 v[3:4], s[6:7], v2, s10, v[0:1]
	s_mov_b32 s4, s2
	s_lshl_b64 s[4:5], s[4:5], 3
	v_mov_b32_e32 v4, 0
	s_waitcnt lgkmcnt(0)
	s_add_u32 s2, s0, s4
	v_lshlrev_b64 v[5:6], 3, v[3:4]
	s_addc_u32 s4, s1, s5
	v_mad_u64_u32 v[0:1], s[0:1], v2, s3, v[0:1]
	v_mov_b32_e32 v3, s12
	v_add_co_u32_e32 v1, vcc, s11, v5
	v_addc_co_u32_e32 v2, vcc, v3, v6, vcc
	global_load_dwordx2 v[2:3], v[1:2], off
	v_mov_b32_e32 v1, v4
	v_lshlrev_b64 v[0:1], 3, v[0:1]
	v_mov_b32_e32 v4, s4
	v_add_co_u32_e32 v0, vcc, s2, v0
	v_addc_co_u32_e32 v1, vcc, v4, v1, vcc
	flat_load_dwordx2 v[4:5], v[0:1]
	s_waitcnt vmcnt(0) lgkmcnt(0)
	v_add_f64 v[2:3], v[4:5], -v[2:3]
	flat_store_dwordx2 v[0:1], v[2:3]
.LBB30_2:
	s_endpgm
	.section	.rodata,"a",@progbits
	.p2align	6, 0x0
	.amdhsa_kernel _ZN9rocsolver6v33100L8addmatA1IdPKPdEEviiT0_iilPT_
		.amdhsa_group_segment_fixed_size 0
		.amdhsa_private_segment_fixed_size 0
		.amdhsa_kernarg_size 296
		.amdhsa_user_sgpr_count 6
		.amdhsa_user_sgpr_private_segment_buffer 1
		.amdhsa_user_sgpr_dispatch_ptr 0
		.amdhsa_user_sgpr_queue_ptr 0
		.amdhsa_user_sgpr_kernarg_segment_ptr 1
		.amdhsa_user_sgpr_dispatch_id 0
		.amdhsa_user_sgpr_flat_scratch_init 0
		.amdhsa_user_sgpr_private_segment_size 0
		.amdhsa_uses_dynamic_stack 0
		.amdhsa_system_sgpr_private_segment_wavefront_offset 0
		.amdhsa_system_sgpr_workgroup_id_x 1
		.amdhsa_system_sgpr_workgroup_id_y 1
		.amdhsa_system_sgpr_workgroup_id_z 1
		.amdhsa_system_sgpr_workgroup_info 0
		.amdhsa_system_vgpr_workitem_id 1
		.amdhsa_next_free_vgpr 7
		.amdhsa_next_free_sgpr 14
		.amdhsa_reserve_vcc 1
		.amdhsa_reserve_flat_scratch 0
		.amdhsa_float_round_mode_32 0
		.amdhsa_float_round_mode_16_64 0
		.amdhsa_float_denorm_mode_32 3
		.amdhsa_float_denorm_mode_16_64 3
		.amdhsa_dx10_clamp 1
		.amdhsa_ieee_mode 1
		.amdhsa_fp16_overflow 0
		.amdhsa_exception_fp_ieee_invalid_op 0
		.amdhsa_exception_fp_denorm_src 0
		.amdhsa_exception_fp_ieee_div_zero 0
		.amdhsa_exception_fp_ieee_overflow 0
		.amdhsa_exception_fp_ieee_underflow 0
		.amdhsa_exception_fp_ieee_inexact 0
		.amdhsa_exception_int_div_zero 0
	.end_amdhsa_kernel
	.section	.text._ZN9rocsolver6v33100L8addmatA1IdPKPdEEviiT0_iilPT_,"axG",@progbits,_ZN9rocsolver6v33100L8addmatA1IdPKPdEEviiT0_iilPT_,comdat
.Lfunc_end30:
	.size	_ZN9rocsolver6v33100L8addmatA1IdPKPdEEviiT0_iilPT_, .Lfunc_end30-_ZN9rocsolver6v33100L8addmatA1IdPKPdEEviiT0_iilPT_
                                        ; -- End function
	.set _ZN9rocsolver6v33100L8addmatA1IdPKPdEEviiT0_iilPT_.num_vgpr, 7
	.set _ZN9rocsolver6v33100L8addmatA1IdPKPdEEviiT0_iilPT_.num_agpr, 0
	.set _ZN9rocsolver6v33100L8addmatA1IdPKPdEEviiT0_iilPT_.numbered_sgpr, 14
	.set _ZN9rocsolver6v33100L8addmatA1IdPKPdEEviiT0_iilPT_.num_named_barrier, 0
	.set _ZN9rocsolver6v33100L8addmatA1IdPKPdEEviiT0_iilPT_.private_seg_size, 0
	.set _ZN9rocsolver6v33100L8addmatA1IdPKPdEEviiT0_iilPT_.uses_vcc, 1
	.set _ZN9rocsolver6v33100L8addmatA1IdPKPdEEviiT0_iilPT_.uses_flat_scratch, 0
	.set _ZN9rocsolver6v33100L8addmatA1IdPKPdEEviiT0_iilPT_.has_dyn_sized_stack, 0
	.set _ZN9rocsolver6v33100L8addmatA1IdPKPdEEviiT0_iilPT_.has_recursion, 0
	.set _ZN9rocsolver6v33100L8addmatA1IdPKPdEEviiT0_iilPT_.has_indirect_call, 0
	.section	.AMDGPU.csdata,"",@progbits
; Kernel info:
; codeLenInByte = 304
; TotalNumSgprs: 18
; NumVgprs: 7
; ScratchSize: 0
; MemoryBound: 0
; FloatMode: 240
; IeeeMode: 1
; LDSByteSize: 0 bytes/workgroup (compile time only)
; SGPRBlocks: 2
; VGPRBlocks: 1
; NumSGPRsForWavesPerEU: 18
; NumVGPRsForWavesPerEU: 7
; Occupancy: 10
; WaveLimiterHint : 1
; COMPUTE_PGM_RSRC2:SCRATCH_EN: 0
; COMPUTE_PGM_RSRC2:USER_SGPR: 6
; COMPUTE_PGM_RSRC2:TRAP_HANDLER: 0
; COMPUTE_PGM_RSRC2:TGID_X_EN: 1
; COMPUTE_PGM_RSRC2:TGID_Y_EN: 1
; COMPUTE_PGM_RSRC2:TGID_Z_EN: 1
; COMPUTE_PGM_RSRC2:TIDIG_COMP_CNT: 1
	.section	.text._ZN9rocsolver6v33100L18copy_array_to_ptrsIdEEvlPKPT_S3_,"axG",@progbits,_ZN9rocsolver6v33100L18copy_array_to_ptrsIdEEvlPKPT_S3_,comdat
	.globl	_ZN9rocsolver6v33100L18copy_array_to_ptrsIdEEvlPKPT_S3_ ; -- Begin function _ZN9rocsolver6v33100L18copy_array_to_ptrsIdEEvlPKPT_S3_
	.p2align	8
	.type	_ZN9rocsolver6v33100L18copy_array_to_ptrsIdEEvlPKPT_S3_,@function
_ZN9rocsolver6v33100L18copy_array_to_ptrsIdEEvlPKPT_S3_: ; @_ZN9rocsolver6v33100L18copy_array_to_ptrsIdEEvlPKPT_S3_
; %bb.0:
	s_mov_b32 s8, s7
	s_load_dword s7, s[4:5], 0x24
	s_load_dwordx4 s[0:3], s[4:5], 0x0
	s_waitcnt lgkmcnt(0)
	s_and_b32 s7, s7, 0xffff
	s_mul_i32 s6, s6, s7
	v_add_u32_e32 v0, s6, v0
	v_ashrrev_i32_e32 v1, 31, v0
	v_cmp_gt_i64_e32 vcc, s[0:1], v[0:1]
	s_and_saveexec_b64 s[6:7], vcc
	s_cbranch_execz .LBB31_2
; %bb.1:
	s_load_dwordx2 s[4:5], s[4:5], 0x10
	s_ashr_i32 s9, s8, 31
	s_mul_hi_u32 s6, s0, s8
	s_mul_i32 s7, s0, s9
	s_add_i32 s6, s6, s7
	s_mul_i32 s1, s1, s8
	s_add_i32 s1, s6, s1
	s_mul_i32 s0, s0, s8
	s_lshl_b64 s[0:1], s[0:1], 3
	s_waitcnt lgkmcnt(0)
	s_add_u32 s0, s4, s0
	v_lshlrev_b64 v[0:1], 3, v[0:1]
	s_addc_u32 s1, s5, s1
	v_mov_b32_e32 v3, s1
	v_add_co_u32_e32 v2, vcc, s0, v0
	v_addc_co_u32_e32 v3, vcc, v3, v1, vcc
	global_load_dwordx2 v[2:3], v[2:3], off
	s_lshl_b64 s[0:1], s[8:9], 3
	s_add_u32 s0, s2, s0
	s_addc_u32 s1, s3, s1
	s_load_dwordx2 s[0:1], s[0:1], 0x0
	s_waitcnt lgkmcnt(0)
	v_mov_b32_e32 v4, s1
	v_add_co_u32_e32 v0, vcc, s0, v0
	v_addc_co_u32_e32 v1, vcc, v4, v1, vcc
	s_waitcnt vmcnt(0)
	flat_store_dwordx2 v[0:1], v[2:3]
.LBB31_2:
	s_endpgm
	.section	.rodata,"a",@progbits
	.p2align	6, 0x0
	.amdhsa_kernel _ZN9rocsolver6v33100L18copy_array_to_ptrsIdEEvlPKPT_S3_
		.amdhsa_group_segment_fixed_size 0
		.amdhsa_private_segment_fixed_size 0
		.amdhsa_kernarg_size 280
		.amdhsa_user_sgpr_count 6
		.amdhsa_user_sgpr_private_segment_buffer 1
		.amdhsa_user_sgpr_dispatch_ptr 0
		.amdhsa_user_sgpr_queue_ptr 0
		.amdhsa_user_sgpr_kernarg_segment_ptr 1
		.amdhsa_user_sgpr_dispatch_id 0
		.amdhsa_user_sgpr_flat_scratch_init 0
		.amdhsa_user_sgpr_private_segment_size 0
		.amdhsa_uses_dynamic_stack 0
		.amdhsa_system_sgpr_private_segment_wavefront_offset 0
		.amdhsa_system_sgpr_workgroup_id_x 1
		.amdhsa_system_sgpr_workgroup_id_y 1
		.amdhsa_system_sgpr_workgroup_id_z 0
		.amdhsa_system_sgpr_workgroup_info 0
		.amdhsa_system_vgpr_workitem_id 0
		.amdhsa_next_free_vgpr 5
		.amdhsa_next_free_sgpr 10
		.amdhsa_reserve_vcc 1
		.amdhsa_reserve_flat_scratch 0
		.amdhsa_float_round_mode_32 0
		.amdhsa_float_round_mode_16_64 0
		.amdhsa_float_denorm_mode_32 3
		.amdhsa_float_denorm_mode_16_64 3
		.amdhsa_dx10_clamp 1
		.amdhsa_ieee_mode 1
		.amdhsa_fp16_overflow 0
		.amdhsa_exception_fp_ieee_invalid_op 0
		.amdhsa_exception_fp_denorm_src 0
		.amdhsa_exception_fp_ieee_div_zero 0
		.amdhsa_exception_fp_ieee_overflow 0
		.amdhsa_exception_fp_ieee_underflow 0
		.amdhsa_exception_fp_ieee_inexact 0
		.amdhsa_exception_int_div_zero 0
	.end_amdhsa_kernel
	.section	.text._ZN9rocsolver6v33100L18copy_array_to_ptrsIdEEvlPKPT_S3_,"axG",@progbits,_ZN9rocsolver6v33100L18copy_array_to_ptrsIdEEvlPKPT_S3_,comdat
.Lfunc_end31:
	.size	_ZN9rocsolver6v33100L18copy_array_to_ptrsIdEEvlPKPT_S3_, .Lfunc_end31-_ZN9rocsolver6v33100L18copy_array_to_ptrsIdEEvlPKPT_S3_
                                        ; -- End function
	.set _ZN9rocsolver6v33100L18copy_array_to_ptrsIdEEvlPKPT_S3_.num_vgpr, 5
	.set _ZN9rocsolver6v33100L18copy_array_to_ptrsIdEEvlPKPT_S3_.num_agpr, 0
	.set _ZN9rocsolver6v33100L18copy_array_to_ptrsIdEEvlPKPT_S3_.numbered_sgpr, 10
	.set _ZN9rocsolver6v33100L18copy_array_to_ptrsIdEEvlPKPT_S3_.num_named_barrier, 0
	.set _ZN9rocsolver6v33100L18copy_array_to_ptrsIdEEvlPKPT_S3_.private_seg_size, 0
	.set _ZN9rocsolver6v33100L18copy_array_to_ptrsIdEEvlPKPT_S3_.uses_vcc, 1
	.set _ZN9rocsolver6v33100L18copy_array_to_ptrsIdEEvlPKPT_S3_.uses_flat_scratch, 0
	.set _ZN9rocsolver6v33100L18copy_array_to_ptrsIdEEvlPKPT_S3_.has_dyn_sized_stack, 0
	.set _ZN9rocsolver6v33100L18copy_array_to_ptrsIdEEvlPKPT_S3_.has_recursion, 0
	.set _ZN9rocsolver6v33100L18copy_array_to_ptrsIdEEvlPKPT_S3_.has_indirect_call, 0
	.section	.AMDGPU.csdata,"",@progbits
; Kernel info:
; codeLenInByte = 188
; TotalNumSgprs: 14
; NumVgprs: 5
; ScratchSize: 0
; MemoryBound: 0
; FloatMode: 240
; IeeeMode: 1
; LDSByteSize: 0 bytes/workgroup (compile time only)
; SGPRBlocks: 1
; VGPRBlocks: 1
; NumSGPRsForWavesPerEU: 14
; NumVGPRsForWavesPerEU: 5
; Occupancy: 10
; WaveLimiterHint : 1
; COMPUTE_PGM_RSRC2:SCRATCH_EN: 0
; COMPUTE_PGM_RSRC2:USER_SGPR: 6
; COMPUTE_PGM_RSRC2:TRAP_HANDLER: 0
; COMPUTE_PGM_RSRC2:TGID_X_EN: 1
; COMPUTE_PGM_RSRC2:TGID_Y_EN: 1
; COMPUTE_PGM_RSRC2:TGID_Z_EN: 0
; COMPUTE_PGM_RSRC2:TIDIG_COMP_CNT: 0
	.section	.text._ZN9rocsolver6v33100L6iota_nI19rocblas_complex_numIfEEEvPT_jS4_,"axG",@progbits,_ZN9rocsolver6v33100L6iota_nI19rocblas_complex_numIfEEEvPT_jS4_,comdat
	.globl	_ZN9rocsolver6v33100L6iota_nI19rocblas_complex_numIfEEEvPT_jS4_ ; -- Begin function _ZN9rocsolver6v33100L6iota_nI19rocblas_complex_numIfEEEvPT_jS4_
	.p2align	8
	.type	_ZN9rocsolver6v33100L6iota_nI19rocblas_complex_numIfEEEvPT_jS4_,@function
_ZN9rocsolver6v33100L6iota_nI19rocblas_complex_numIfEEEvPT_jS4_: ; @_ZN9rocsolver6v33100L6iota_nI19rocblas_complex_numIfEEEvPT_jS4_
; %bb.0:
	s_load_dword s0, s[4:5], 0x8
	s_waitcnt lgkmcnt(0)
	v_cmp_gt_u32_e32 vcc, s0, v0
	s_and_saveexec_b64 s[0:1], vcc
	s_cbranch_execz .LBB32_2
; %bb.1:
	s_load_dwordx2 s[0:1], s[4:5], 0xc
	s_load_dwordx2 s[2:3], s[4:5], 0x0
	v_cvt_f32_ubyte0_e32 v1, v0
	v_lshlrev_b32_e32 v0, 3, v0
	s_waitcnt lgkmcnt(0)
	v_add_f32_e32 v1, s0, v1
	v_add_f32_e64 v2, s1, 0
	global_store_dwordx2 v0, v[1:2], s[2:3]
.LBB32_2:
	s_endpgm
	.section	.rodata,"a",@progbits
	.p2align	6, 0x0
	.amdhsa_kernel _ZN9rocsolver6v33100L6iota_nI19rocblas_complex_numIfEEEvPT_jS4_
		.amdhsa_group_segment_fixed_size 0
		.amdhsa_private_segment_fixed_size 0
		.amdhsa_kernarg_size 20
		.amdhsa_user_sgpr_count 6
		.amdhsa_user_sgpr_private_segment_buffer 1
		.amdhsa_user_sgpr_dispatch_ptr 0
		.amdhsa_user_sgpr_queue_ptr 0
		.amdhsa_user_sgpr_kernarg_segment_ptr 1
		.amdhsa_user_sgpr_dispatch_id 0
		.amdhsa_user_sgpr_flat_scratch_init 0
		.amdhsa_user_sgpr_private_segment_size 0
		.amdhsa_uses_dynamic_stack 0
		.amdhsa_system_sgpr_private_segment_wavefront_offset 0
		.amdhsa_system_sgpr_workgroup_id_x 1
		.amdhsa_system_sgpr_workgroup_id_y 0
		.amdhsa_system_sgpr_workgroup_id_z 0
		.amdhsa_system_sgpr_workgroup_info 0
		.amdhsa_system_vgpr_workitem_id 0
		.amdhsa_next_free_vgpr 3
		.amdhsa_next_free_sgpr 6
		.amdhsa_reserve_vcc 1
		.amdhsa_reserve_flat_scratch 0
		.amdhsa_float_round_mode_32 0
		.amdhsa_float_round_mode_16_64 0
		.amdhsa_float_denorm_mode_32 3
		.amdhsa_float_denorm_mode_16_64 3
		.amdhsa_dx10_clamp 1
		.amdhsa_ieee_mode 1
		.amdhsa_fp16_overflow 0
		.amdhsa_exception_fp_ieee_invalid_op 0
		.amdhsa_exception_fp_denorm_src 0
		.amdhsa_exception_fp_ieee_div_zero 0
		.amdhsa_exception_fp_ieee_overflow 0
		.amdhsa_exception_fp_ieee_underflow 0
		.amdhsa_exception_fp_ieee_inexact 0
		.amdhsa_exception_int_div_zero 0
	.end_amdhsa_kernel
	.section	.text._ZN9rocsolver6v33100L6iota_nI19rocblas_complex_numIfEEEvPT_jS4_,"axG",@progbits,_ZN9rocsolver6v33100L6iota_nI19rocblas_complex_numIfEEEvPT_jS4_,comdat
.Lfunc_end32:
	.size	_ZN9rocsolver6v33100L6iota_nI19rocblas_complex_numIfEEEvPT_jS4_, .Lfunc_end32-_ZN9rocsolver6v33100L6iota_nI19rocblas_complex_numIfEEEvPT_jS4_
                                        ; -- End function
	.set _ZN9rocsolver6v33100L6iota_nI19rocblas_complex_numIfEEEvPT_jS4_.num_vgpr, 3
	.set _ZN9rocsolver6v33100L6iota_nI19rocblas_complex_numIfEEEvPT_jS4_.num_agpr, 0
	.set _ZN9rocsolver6v33100L6iota_nI19rocblas_complex_numIfEEEvPT_jS4_.numbered_sgpr, 6
	.set _ZN9rocsolver6v33100L6iota_nI19rocblas_complex_numIfEEEvPT_jS4_.num_named_barrier, 0
	.set _ZN9rocsolver6v33100L6iota_nI19rocblas_complex_numIfEEEvPT_jS4_.private_seg_size, 0
	.set _ZN9rocsolver6v33100L6iota_nI19rocblas_complex_numIfEEEvPT_jS4_.uses_vcc, 1
	.set _ZN9rocsolver6v33100L6iota_nI19rocblas_complex_numIfEEEvPT_jS4_.uses_flat_scratch, 0
	.set _ZN9rocsolver6v33100L6iota_nI19rocblas_complex_numIfEEEvPT_jS4_.has_dyn_sized_stack, 0
	.set _ZN9rocsolver6v33100L6iota_nI19rocblas_complex_numIfEEEvPT_jS4_.has_recursion, 0
	.set _ZN9rocsolver6v33100L6iota_nI19rocblas_complex_numIfEEEvPT_jS4_.has_indirect_call, 0
	.section	.AMDGPU.csdata,"",@progbits
; Kernel info:
; codeLenInByte = 76
; TotalNumSgprs: 10
; NumVgprs: 3
; ScratchSize: 0
; MemoryBound: 0
; FloatMode: 240
; IeeeMode: 1
; LDSByteSize: 0 bytes/workgroup (compile time only)
; SGPRBlocks: 1
; VGPRBlocks: 0
; NumSGPRsForWavesPerEU: 10
; NumVGPRsForWavesPerEU: 3
; Occupancy: 10
; WaveLimiterHint : 0
; COMPUTE_PGM_RSRC2:SCRATCH_EN: 0
; COMPUTE_PGM_RSRC2:USER_SGPR: 6
; COMPUTE_PGM_RSRC2:TRAP_HANDLER: 0
; COMPUTE_PGM_RSRC2:TGID_X_EN: 1
; COMPUTE_PGM_RSRC2:TGID_Y_EN: 0
; COMPUTE_PGM_RSRC2:TGID_Z_EN: 0
; COMPUTE_PGM_RSRC2:TIDIG_COMP_CNT: 0
	.section	.text._ZN9rocsolver6v33100L18geqr2_kernel_smallILi256E19rocblas_complex_numIfEifPKPS3_EEvT1_S7_T3_lS7_lPT2_lPT0_l,"axG",@progbits,_ZN9rocsolver6v33100L18geqr2_kernel_smallILi256E19rocblas_complex_numIfEifPKPS3_EEvT1_S7_T3_lS7_lPT2_lPT0_l,comdat
	.globl	_ZN9rocsolver6v33100L18geqr2_kernel_smallILi256E19rocblas_complex_numIfEifPKPS3_EEvT1_S7_T3_lS7_lPT2_lPT0_l ; -- Begin function _ZN9rocsolver6v33100L18geqr2_kernel_smallILi256E19rocblas_complex_numIfEifPKPS3_EEvT1_S7_T3_lS7_lPT2_lPT0_l
	.p2align	8
	.type	_ZN9rocsolver6v33100L18geqr2_kernel_smallILi256E19rocblas_complex_numIfEifPKPS3_EEvT1_S7_T3_lS7_lPT2_lPT0_l,@function
_ZN9rocsolver6v33100L18geqr2_kernel_smallILi256E19rocblas_complex_numIfEifPKPS3_EEvT1_S7_T3_lS7_lPT2_lPT0_l: ; @_ZN9rocsolver6v33100L18geqr2_kernel_smallILi256E19rocblas_complex_numIfEifPKPS3_EEvT1_S7_T3_lS7_lPT2_lPT0_l
; %bb.0:
	s_load_dwordx4 s[0:3], s[4:5], 0x8
	s_mov_b32 s6, s7
	s_ashr_i32 s7, s7, 31
	s_lshl_b64 s[8:9], s[6:7], 3
	v_and_b32_e32 v1, 0x7f, v0
	s_waitcnt lgkmcnt(0)
	s_add_u32 s0, s0, s8
	s_addc_u32 s1, s1, s9
	s_load_dwordx2 s[8:9], s[0:1], 0x0
	s_load_dwordx2 s[16:17], s[4:5], 0x0
	s_load_dword s30, s[4:5], 0x18
	s_lshl_b64 s[0:1], s[2:3], 3
	v_lshrrev_b32_e32 v5, 7, v0
	s_waitcnt lgkmcnt(0)
	s_add_u32 s28, s8, s0
	s_addc_u32 s29, s9, s1
	v_cmp_gt_i32_e64 s[0:1], s16, v1
	v_lshlrev_b32_e32 v6, 3, v1
	s_and_saveexec_b64 s[8:9], s[0:1]
	s_cbranch_execz .LBB33_6
; %bb.1:
	v_lshrrev_b32_e32 v7, 7, v0
	v_mul_lo_u32 v2, s16, v7
	s_lshl_b32 s18, s16, 4
	v_cmp_gt_i32_e32 vcc, s17, v7
	s_lshl_b32 s19, s30, 1
	v_lshlrev_b32_e32 v2, 3, v2
	v_add3_u32 v8, v2, v6, 0
	v_mad_u64_u32 v[2:3], s[2:3], s30, v7, v[1:2]
	s_mov_b64 s[10:11], 0
	v_mov_b32_e32 v9, v1
	s_branch .LBB33_3
.LBB33_2:                               ;   in Loop: Header=BB33_3 Depth=1
	s_or_b64 exec, exec, s[12:13]
	v_add_u32_e32 v9, 0x80, v9
	v_cmp_le_i32_e64 s[2:3], s16, v9
	v_add_u32_e32 v8, 0x400, v8
	s_or_b64 s[10:11], s[2:3], s[10:11]
	v_add_u32_e32 v2, 0x80, v2
	s_andn2_b64 exec, exec, s[10:11]
	s_cbranch_execz .LBB33_6
.LBB33_3:                               ; =>This Loop Header: Depth=1
                                        ;     Child Loop BB33_5 Depth 2
	s_and_saveexec_b64 s[12:13], vcc
	s_cbranch_execz .LBB33_2
; %bb.4:                                ;   in Loop: Header=BB33_3 Depth=1
	s_mov_b64 s[14:15], 0
	v_mov_b32_e32 v3, v2
	v_mov_b32_e32 v10, v8
	;; [unrolled: 1-line block ×3, first 2 shown]
.LBB33_5:                               ;   Parent Loop BB33_3 Depth=1
                                        ; =>  This Inner Loop Header: Depth=2
	v_ashrrev_i32_e32 v4, 31, v3
	v_lshlrev_b64 v[12:13], 3, v[3:4]
	v_mov_b32_e32 v14, s29
	v_add_co_u32_e64 v12, s[2:3], s28, v12
	v_addc_co_u32_e64 v13, s[2:3], v14, v13, s[2:3]
	flat_load_dwordx2 v[12:13], v[12:13]
	v_add_u32_e32 v11, 2, v11
	v_cmp_le_i32_e64 s[2:3], s17, v11
	v_add_u32_e32 v3, s19, v3
	s_or_b64 s[14:15], s[2:3], s[14:15]
	s_waitcnt vmcnt(0) lgkmcnt(0)
	ds_write_b64 v10, v[12:13]
	v_add_u32_e32 v10, s18, v10
	s_andn2_b64 exec, exec, s[14:15]
	s_cbranch_execnz .LBB33_5
	s_branch .LBB33_2
.LBB33_6:
	s_or_b64 exec, exec, s[8:9]
	s_min_i32 s31, s17, s16
	s_cmp_lt_i32 s31, 1
	s_waitcnt lgkmcnt(0)
	s_barrier
	s_cbranch_scc1 .LBB33_46
; %bb.7:
	s_load_dwordx8 s[8:15], s[4:5], 0x28
	v_mbcnt_lo_u32_b32 v2, -1, 0
	v_mbcnt_hi_u32_b32 v2, -1, v2
	v_and_b32_e32 v3, 63, v2
	v_cmp_ne_u32_e32 vcc, 63, v3
	s_waitcnt lgkmcnt(0)
	s_mul_i32 s3, s10, s7
	s_mul_hi_u32 s4, s10, s6
	s_mul_i32 s5, s11, s6
	s_add_i32 s3, s4, s3
	s_mul_i32 s2, s10, s6
	s_add_i32 s3, s3, s5
	s_lshl_b64 s[2:3], s[2:3], 2
	s_mul_i32 s7, s14, s7
	s_add_u32 s33, s8, s2
	s_mul_hi_u32 s2, s14, s6
	s_addc_u32 s34, s9, s3
	s_add_i32 s2, s2, s7
	s_mul_i32 s3, s15, s6
	v_addc_co_u32_e32 v4, vcc, 0, v2, vcc
	s_add_i32 s3, s2, s3
	s_mul_i32 s2, s14, s6
	v_cmp_gt_u32_e32 vcc, 62, v3
	s_lshl_b64 s[2:3], s[2:3], 3
	v_lshlrev_b32_e32 v7, 2, v4
	v_cndmask_b32_e64 v4, 0, 2, vcc
	v_cmp_gt_u32_e32 vcc, 60, v3
	s_add_u32 s35, s12, s2
	s_mul_i32 s2, s17, s16
	v_add_lshl_u32 v8, v4, v2, 2
	v_cndmask_b32_e64 v4, 0, 4, vcc
	v_cmp_gt_u32_e32 vcc, 56, v3
	s_addc_u32 s36, s13, s3
	s_lshl_b32 s2, s2, 3
	v_add_lshl_u32 v9, v4, v2, 2
	v_cndmask_b32_e64 v4, 0, 8, vcc
	s_add_i32 s37, s2, 0
	s_lshl_b32 s2, s17, 3
	v_add_lshl_u32 v10, v4, v2, 2
	v_cmp_gt_u32_e32 vcc, 48, v3
	v_mul_lo_u32 v4, s16, v0
	s_add_i32 s38, s37, s2
	v_cndmask_b32_e64 v3, 0, 16, vcc
	v_add_lshl_u32 v11, v3, v2, 2
	v_mov_b32_e32 v3, 0x80
	s_cmp_lg_u64 s[8:9], 0
	v_lshl_or_b32 v12, v2, 2, v3
	v_and_b32_e32 v2, 63, v0
	s_cselect_b64 s[18:19], -1, 0
	s_lshl_b32 s39, s16, 3
	s_mov_b32 s15, 0
	v_cmp_eq_u32_e64 s[2:3], 0, v2
	v_lshrrev_b32_e32 v2, 3, v0
	v_lshlrev_b32_e32 v3, 3, v0
	v_add_u32_e32 v4, s16, v4
	s_add_i32 s6, s39, 0
	v_cmp_eq_u32_e64 s[4:5], 0, v0
	v_add3_u32 v13, v3, 0, 8
	s_add_i32 s40, s39, 8
	v_lshl_add_u32 v14, v4, 3, 0
	s_lshl_b32 s41, s16, 11
	v_add_u32_e32 v15, s6, v3
	v_add_u32_e32 v16, s38, v2
	v_mov_b32_e32 v2, 0
	v_mov_b32_e32 v17, 1.0
	s_mov_b32 s42, 0xf800000
	s_mov_b32 s43, 0
	;; [unrolled: 1-line block ×5, first 2 shown]
	s_branch .LBB33_9
.LBB33_8:                               ;   in Loop: Header=BB33_9 Depth=1
	s_or_b64 exec, exec, s[6:7]
	s_add_i32 s44, s44, -1
	s_add_i32 s14, s14, 1
	s_add_i32 s45, s45, -1
	s_add_i32 s43, s43, s40
	v_add_u32_e32 v13, s40, v13
	v_add_u32_e32 v14, s40, v14
	s_cmp_eq_u32 s14, s31
	v_add_u32_e32 v15, s40, v15
	s_waitcnt lgkmcnt(0)
	s_barrier
	s_cbranch_scc1 .LBB33_46
.LBB33_9:                               ; =>This Loop Header: Depth=1
                                        ;     Child Loop BB33_11 Depth 2
                                        ;     Child Loop BB33_31 Depth 2
	;; [unrolled: 1-line block ×3, first 2 shown]
                                        ;       Child Loop BB33_38 Depth 3
                                        ;     Child Loop BB33_42 Depth 2
                                        ;       Child Loop BB33_44 Depth 3
	s_sub_i32 s46, s16, s14
	s_add_i32 s48, s46, -1
	v_cmp_gt_i32_e64 s[6:7], s48, v0
	v_mov_b32_e32 v3, 0
	v_mov_b32_e32 v4, 0
	s_and_saveexec_b64 s[8:9], s[6:7]
	s_cbranch_execz .LBB33_13
; %bb.10:                               ;   in Loop: Header=BB33_9 Depth=1
	v_mov_b32_e32 v3, 0
	s_mov_b64 s[10:11], 0
	v_mov_b32_e32 v18, v13
	v_mov_b32_e32 v19, v0
	;; [unrolled: 1-line block ×3, first 2 shown]
.LBB33_11:                              ;   Parent Loop BB33_9 Depth=1
                                        ; =>  This Inner Loop Header: Depth=2
	ds_read_b64 v[20:21], v18
	v_add_u32_e32 v19, 0x100, v19
	v_cmp_le_i32_e32 vcc, s48, v19
	v_add_u32_e32 v18, 0x800, v18
	s_or_b64 s[10:11], vcc, s[10:11]
	s_waitcnt lgkmcnt(0)
	v_mul_f32_e32 v22, v21, v21
	v_mul_f32_e32 v23, v21, v20
	v_fmac_f32_e32 v22, v20, v20
	v_fma_f32 v20, v20, v21, -v23
	v_add_f32_e32 v4, v4, v22
	v_add_f32_e32 v3, v3, v20
	s_andn2_b64 exec, exec, s[10:11]
	s_cbranch_execnz .LBB33_11
; %bb.12:                               ;   in Loop: Header=BB33_9 Depth=1
	s_or_b64 exec, exec, s[10:11]
.LBB33_13:                              ;   in Loop: Header=BB33_9 Depth=1
	s_or_b64 exec, exec, s[8:9]
	ds_bpermute_b32 v18, v7, v4
	ds_bpermute_b32 v19, v7, v3
	s_waitcnt lgkmcnt(1)
	v_add_f32_e32 v4, v4, v18
	s_waitcnt lgkmcnt(0)
	v_add_f32_e32 v3, v3, v19
	ds_bpermute_b32 v18, v8, v4
	ds_bpermute_b32 v19, v8, v3
	s_waitcnt lgkmcnt(1)
	v_add_f32_e32 v4, v4, v18
	s_waitcnt lgkmcnt(0)
	v_add_f32_e32 v3, v3, v19
	;; [unrolled: 6-line block ×5, first 2 shown]
	ds_bpermute_b32 v3, v12, v20
	ds_bpermute_b32 v18, v12, v4
	s_waitcnt lgkmcnt(1)
	v_add_f32_e32 v3, v20, v3
	s_and_saveexec_b64 s[8:9], s[2:3]
	s_cbranch_execz .LBB33_15
; %bb.14:                               ;   in Loop: Header=BB33_9 Depth=1
	s_waitcnt lgkmcnt(0)
	v_add_f32_e32 v4, v4, v18
	ds_write2_b32 v16, v3, v4 offset0:2 offset1:3
.LBB33_15:                              ;   in Loop: Header=BB33_9 Depth=1
	s_or_b64 exec, exec, s[8:9]
	s_lshl_b32 s8, s14, 3
	s_add_i32 s47, s8, 0
	s_mul_i32 s8, s14, s16
	s_lshl_b32 s8, s8, 3
	s_add_i32 s47, s47, s8
	s_waitcnt lgkmcnt(0)
	s_barrier
	s_and_saveexec_b64 s[20:21], s[4:5]
	s_cbranch_execz .LBB33_29
; %bb.16:                               ;   in Loop: Header=BB33_9 Depth=1
	v_mov_b32_e32 v4, s38
	ds_read2_b32 v[19:20], v4 offset0:4 offset1:6
	v_mov_b32_e32 v18, s47
	ds_read_b32 v4, v4 offset:32
	ds_read_b32 v18, v18 offset:4
	s_lshl_b64 s[8:9], s[14:15], 2
	s_waitcnt lgkmcnt(2)
	v_add_f32_e32 v3, v3, v19
	v_add_f32_e32 v3, v3, v20
	s_waitcnt lgkmcnt(1)
	v_add_f32_e32 v20, v3, v4
	s_waitcnt lgkmcnt(0)
	v_mul_f32_e32 v19, v18, v18
	s_add_u32 s24, s33, s8
	v_max_f32_e32 v3, v20, v19
	s_addc_u32 s25, s34, s9
	v_cmp_nlt_f32_e32 vcc, 0, v3
	s_mov_b64 s[22:23], 0
	s_and_saveexec_b64 s[8:9], vcc
	s_xor_b64 s[8:9], exec, s[8:9]
	s_cbranch_execz .LBB33_21
; %bb.17:                               ;   in Loop: Header=BB33_9 Depth=1
	v_mov_b32_e32 v3, v2
	v_mov_b32_e32 v4, s38
	s_and_b64 vcc, exec, s[18:19]
	ds_write_b64 v4, v[2:3]
	s_cbranch_vccz .LBB33_19
; %bb.18:                               ;   in Loop: Header=BB33_9 Depth=1
	v_mov_b32_e32 v3, s47
	ds_read_b32 v4, v3
	s_mov_b64 s[10:11], -1
	ds_write_b32 v3, v17
	s_waitcnt lgkmcnt(1)
	global_store_dword v2, v4, s[24:25]
	s_branch .LBB33_20
.LBB33_19:                              ;   in Loop: Header=BB33_9 Depth=1
	s_mov_b64 s[10:11], 0
.LBB33_20:                              ;   in Loop: Header=BB33_9 Depth=1
	s_and_b64 s[22:23], s[10:11], exec
                                        ; implicit-def: $vgpr18
                                        ; implicit-def: $vgpr19
                                        ; implicit-def: $vgpr20
.LBB33_21:                              ;   in Loop: Header=BB33_9 Depth=1
	s_or_saveexec_b64 s[26:27], s[8:9]
	v_mov_b32_e32 v3, 1.0
	v_mov_b32_e32 v4, 0
	s_xor_b64 exec, exec, s[26:27]
	s_cbranch_execz .LBB33_26
; %bb.22:                               ;   in Loop: Header=BB33_9 Depth=1
	v_mov_b32_e32 v3, s47
	ds_read_b32 v21, v3
	s_waitcnt lgkmcnt(0)
	v_fma_f32 v3, v21, v21, v19
	v_add_f32_e32 v3, v20, v3
	v_mul_f32_e32 v4, 0x4f800000, v3
	v_cmp_gt_f32_e32 vcc, s42, v3
	v_cndmask_b32_e32 v3, v3, v4, vcc
	v_sqrt_f32_e32 v4, v3
	v_mov_b32_e32 v20, 0x260
	v_add_u32_e32 v22, -1, v4
	v_add_u32_e32 v23, 1, v4
	v_fma_f32 v24, -v22, v4, v3
	v_fma_f32 v25, -v23, v4, v3
	v_cmp_ge_f32_e64 s[8:9], 0, v24
	v_cndmask_b32_e64 v4, v4, v22, s[8:9]
	v_cmp_lt_f32_e64 s[8:9], 0, v25
	v_cndmask_b32_e64 v4, v4, v23, s[8:9]
	v_mul_f32_e32 v22, 0x37800000, v4
	v_cndmask_b32_e32 v4, v4, v22, vcc
	v_cmp_class_f32_e32 vcc, v3, v20
	v_cndmask_b32_e32 v3, v4, v3, vcc
	v_cmp_le_f32_e32 vcc, 0, v21
	v_cndmask_b32_e64 v4, v3, -v3, vcc
	v_sub_f32_e32 v3, v21, v4
	v_fmac_f32_e32 v19, v3, v3
	v_div_scale_f32 v20, s[8:9], v19, v19, v3
	v_div_scale_f32 v22, s[8:9], v19, v19, -v18
	v_div_scale_f32 v23, vcc, v3, v19, v3
	v_div_scale_f32 v25, s[8:9], v4, v4, -v18
	v_sub_f32_e32 v24, v4, v21
	v_div_scale_f32 v21, s[8:9], -v18, v19, -v18
	v_div_scale_f32 v26, s[10:11], v4, v4, v24
	v_div_scale_f32 v29, s[10:11], v24, v4, v24
	v_rcp_f32_e32 v27, v20
	v_rcp_f32_e32 v28, v22
	v_fma_f32 v30, -v20, v27, 1.0
	v_fmac_f32_e32 v27, v30, v27
	v_fma_f32 v31, -v22, v28, 1.0
	v_mul_f32_e32 v30, v23, v27
	v_fmac_f32_e32 v28, v31, v28
	v_fma_f32 v31, -v20, v30, v23
	v_fmac_f32_e32 v30, v31, v27
	v_fma_f32 v20, -v20, v30, v23
	v_mul_f32_e32 v23, v21, v28
	v_div_fmas_f32 v20, v20, v27, v30
	v_fma_f32 v27, -v22, v23, v21
	v_fmac_f32_e32 v23, v27, v28
	v_div_scale_f32 v27, s[12:13], -v18, v4, -v18
	v_rcp_f32_e32 v30, v26
	v_fma_f32 v21, -v22, v23, v21
	s_mov_b64 vcc, s[8:9]
	v_div_fmas_f32 v21, v21, v28, v23
	v_fma_f32 v22, -v26, v30, 1.0
	v_fmac_f32_e32 v30, v22, v30
	v_mul_f32_e32 v22, v29, v30
	v_fma_f32 v23, -v26, v22, v29
	v_fmac_f32_e32 v22, v23, v30
	v_rcp_f32_e32 v23, v25
	v_fma_f32 v26, -v26, v22, v29
	s_mov_b64 vcc, s[10:11]
	v_div_fmas_f32 v22, v26, v30, v22
	v_fma_f32 v26, -v25, v23, 1.0
	v_fmac_f32_e32 v23, v26, v23
	v_mul_f32_e32 v26, v27, v23
	v_fma_f32 v28, -v25, v26, v27
	v_fmac_f32_e32 v26, v28, v23
	v_fma_f32 v25, -v25, v26, v27
	s_mov_b64 vcc, s[12:13]
	v_div_fmas_f32 v23, v25, v23, v26
	s_and_b64 vcc, exec, s[18:19]
	v_div_fixup_f32 v22, v22, v4, v24
	v_mov_b32_e32 v24, s38
	v_div_fixup_f32 v23, v23, v4, -v18
	ds_write_b64 v24, v[22:23]
	s_cbranch_vccz .LBB33_45
; %bb.23:                               ;   in Loop: Header=BB33_9 Depth=1
	v_mov_b32_e32 v22, s47
	global_store_dword v2, v4, s[24:25]
	ds_write_b32 v22, v17
	s_cbranch_execnz .LBB33_25
.LBB33_24:                              ;   in Loop: Header=BB33_9 Depth=1
	v_mov_b32_e32 v22, s47
	ds_write_b32 v22, v4
.LBB33_25:                              ;   in Loop: Header=BB33_9 Depth=1
	v_div_fixup_f32 v3, v20, v19, v3
	v_div_fixup_f32 v4, v21, v19, -v18
	s_or_b64 s[22:23], s[22:23], exec
.LBB33_26:                              ;   in Loop: Header=BB33_9 Depth=1
	s_or_b64 exec, exec, s[26:27]
	s_and_saveexec_b64 s[8:9], s[22:23]
; %bb.27:                               ;   in Loop: Header=BB33_9 Depth=1
	v_mov_b32_e32 v18, s47
	ds_write_b32 v18, v2 offset:4
; %bb.28:                               ;   in Loop: Header=BB33_9 Depth=1
	s_or_b64 exec, exec, s[8:9]
	v_mov_b32_e32 v20, s38
	ds_read_b64 v[18:19], v20
	s_lshl_b64 s[8:9], s[14:15], 3
	s_add_u32 s8, s35, s8
	s_addc_u32 s9, s36, s9
	s_waitcnt lgkmcnt(0)
	global_store_dwordx2 v2, v[18:19], s[8:9]
	v_xor_b32_e32 v19, 0x80000000, v19
	ds_write2_b64 v20, v[18:19], v[3:4] offset1:1
.LBB33_29:                              ;   in Loop: Header=BB33_9 Depth=1
	s_or_b64 exec, exec, s[20:21]
	s_waitcnt vmcnt(0) lgkmcnt(0)
	s_barrier
	s_and_saveexec_b64 s[8:9], s[6:7]
	s_cbranch_execz .LBB33_32
; %bb.30:                               ;   in Loop: Header=BB33_9 Depth=1
	s_mov_b32 s10, 0
	s_mov_b64 s[6:7], 0
	v_mov_b32_e32 v3, v0
.LBB33_31:                              ;   Parent Loop BB33_9 Depth=1
                                        ; =>  This Inner Loop Header: Depth=2
	v_mov_b32_e32 v18, s38
	v_add_u32_e32 v4, s10, v13
	ds_read_b64 v[18:19], v18 offset:8
	ds_read_b64 v[20:21], v4
	v_add_u32_e32 v3, 0x100, v3
	s_addk_i32 s10, 0x800
	v_cmp_le_i32_e32 vcc, s48, v3
	s_or_b64 s[6:7], vcc, s[6:7]
	s_waitcnt lgkmcnt(0)
	v_mul_f32_e32 v23, v19, v21
	v_mul_f32_e32 v22, v18, v21
	v_fma_f32 v21, v18, v20, -v23
	v_fmac_f32_e32 v22, v19, v20
	ds_write_b64 v4, v[21:22]
	s_andn2_b64 exec, exec, s[6:7]
	s_cbranch_execnz .LBB33_31
.LBB33_32:                              ;   in Loop: Header=BB33_9 Depth=1
	s_or_b64 exec, exec, s[8:9]
	s_not_b32 s6, s14
	s_add_i32 s12, s17, s6
	v_cmp_gt_i32_e32 vcc, s12, v0
	s_waitcnt lgkmcnt(0)
	s_barrier
	s_and_saveexec_b64 s[6:7], vcc
	s_cbranch_execz .LBB33_39
; %bb.33:                               ;   in Loop: Header=BB33_9 Depth=1
	s_cmp_gt_i32 s46, 0
	s_mov_b64 s[8:9], 0
	s_cselect_b64 s[10:11], -1, 0
	v_mov_b32_e32 v3, v14
	v_mov_b32_e32 v4, v0
	s_branch .LBB33_36
.LBB33_34:                              ;   in Loop: Header=BB33_36 Depth=2
	v_mov_b32_e32 v19, 0
.LBB33_35:                              ;   in Loop: Header=BB33_36 Depth=2
	v_mov_b32_e32 v20, s38
	ds_read_b64 v[20:21], v20
	v_lshl_add_u32 v23, v4, 3, s37
	v_add_u32_e32 v4, 0x100, v4
	v_cmp_le_i32_e32 vcc, s12, v4
	s_or_b64 s[8:9], vcc, s[8:9]
	s_waitcnt lgkmcnt(0)
	v_mul_f32_e32 v24, v18, v21
	v_mul_f32_e32 v22, v19, v21
	v_fma_f32 v21, v19, v20, -v24
	v_fmac_f32_e32 v22, v18, v20
	v_add_u32_e32 v3, s41, v3
	ds_write_b64 v23, v[21:22]
	s_andn2_b64 exec, exec, s[8:9]
	s_cbranch_execz .LBB33_39
.LBB33_36:                              ;   Parent Loop BB33_9 Depth=1
                                        ; =>  This Loop Header: Depth=2
                                        ;       Child Loop BB33_38 Depth 3
	v_mov_b32_e32 v18, 0
	s_andn2_b64 vcc, exec, s[10:11]
	s_cbranch_vccnz .LBB33_34
; %bb.37:                               ;   in Loop: Header=BB33_36 Depth=2
	s_mov_b32 s13, s43
	s_mov_b32 s20, s45
	v_mov_b32_e32 v20, v3
	v_mov_b32_e32 v19, 0
.LBB33_38:                              ;   Parent Loop BB33_9 Depth=1
                                        ;     Parent Loop BB33_36 Depth=2
                                        ; =>    This Inner Loop Header: Depth=3
	v_mov_b32_e32 v23, s13
	ds_read_b64 v[21:22], v20
	ds_read_b64 v[23:24], v23
	s_add_i32 s20, s20, -1
	s_add_i32 s13, s13, 8
	v_add_u32_e32 v20, 8, v20
	s_cmp_eq_u32 s20, 0
	s_waitcnt lgkmcnt(0)
	v_mul_f32_e32 v25, v24, v22
	v_mul_f32_e32 v24, v24, v21
	v_fmac_f32_e32 v25, v23, v21
	v_fma_f32 v21, v23, v22, -v24
	v_add_f32_e32 v19, v19, v25
	v_add_f32_e32 v18, v18, v21
	s_cbranch_scc0 .LBB33_38
	s_branch .LBB33_35
.LBB33_39:                              ;   in Loop: Header=BB33_9 Depth=1
	s_or_b64 exec, exec, s[6:7]
	v_cmp_gt_i32_e32 vcc, s46, v0
	s_waitcnt lgkmcnt(0)
	s_barrier
	s_and_saveexec_b64 s[6:7], vcc
	s_cbranch_execz .LBB33_8
; %bb.40:                               ;   in Loop: Header=BB33_9 Depth=1
	s_cmp_gt_i32 s12, 0
	s_mov_b64 s[8:9], 0
	s_cselect_b64 s[10:11], -1, 0
	v_mov_b32_e32 v3, v15
	v_mov_b32_e32 v4, v0
	s_branch .LBB33_42
.LBB33_41:                              ;   in Loop: Header=BB33_42 Depth=2
	v_add_u32_e32 v4, 0x100, v4
	v_cmp_le_i32_e32 vcc, s46, v4
	s_or_b64 s[8:9], vcc, s[8:9]
	v_add_u32_e32 v3, 0x800, v3
	s_andn2_b64 exec, exec, s[8:9]
	s_cbranch_execz .LBB33_8
.LBB33_42:                              ;   Parent Loop BB33_9 Depth=1
                                        ; =>  This Loop Header: Depth=2
                                        ;       Child Loop BB33_44 Depth 3
	s_andn2_b64 vcc, exec, s[10:11]
	s_cbranch_vccnz .LBB33_41
; %bb.43:                               ;   in Loop: Header=BB33_42 Depth=2
	v_lshl_add_u32 v18, v4, 3, s47
	s_mov_b32 s12, 1
	s_mov_b32 s13, s37
	v_mov_b32_e32 v19, v3
.LBB33_44:                              ;   Parent Loop BB33_9 Depth=1
                                        ;     Parent Loop BB33_42 Depth=2
                                        ; =>    This Inner Loop Header: Depth=3
	v_mov_b32_e32 v24, s13
	ds_read_b64 v[20:21], v18
	ds_read_b64 v[24:25], v24
	;; [unrolled: 1-line block ×3, first 2 shown]
	s_add_i32 s12, s12, 1
	s_add_i32 s13, s13, 8
	s_cmp_eq_u32 s44, s12
	s_waitcnt lgkmcnt(1)
	v_mul_f32_e32 v26, v25, v21
	v_mul_f32_e32 v21, v24, v21
	v_fma_f32 v24, v24, v20, -v26
	v_fmac_f32_e32 v21, v25, v20
	s_waitcnt lgkmcnt(0)
	v_sub_f32_e32 v20, v22, v24
	v_sub_f32_e32 v21, v23, v21
	ds_write_b64 v19, v[20:21]
	v_add_u32_e32 v19, s39, v19
	s_cbranch_scc0 .LBB33_44
	s_branch .LBB33_41
.LBB33_45:                              ;   in Loop: Header=BB33_9 Depth=1
	s_branch .LBB33_24
.LBB33_46:
	s_and_saveexec_b64 s[2:3], s[0:1]
	s_cbranch_execz .LBB33_52
; %bb.47:
	v_mul_lo_u32 v0, s16, v5
	v_mad_u64_u32 v[2:3], s[0:1], s30, v5, v[1:2]
	v_cmp_gt_i32_e32 vcc, s17, v5
	v_lshlrev_b32_e32 v0, 3, v0
	s_lshl_b32 s8, s30, 1
	v_add3_u32 v0, v0, v6, 0
	s_lshl_b32 s9, s16, 4
	s_mov_b64 s[2:3], 0
	s_branch .LBB33_49
.LBB33_48:                              ;   in Loop: Header=BB33_49 Depth=1
	s_or_b64 exec, exec, s[4:5]
	v_add_u32_e32 v1, 0x80, v1
	v_cmp_le_i32_e64 s[0:1], s16, v1
	v_add_u32_e32 v2, 0x80, v2
	s_or_b64 s[2:3], s[0:1], s[2:3]
	v_add_u32_e32 v0, 0x400, v0
	s_andn2_b64 exec, exec, s[2:3]
	s_cbranch_execz .LBB33_52
.LBB33_49:                              ; =>This Loop Header: Depth=1
                                        ;     Child Loop BB33_51 Depth 2
	s_and_saveexec_b64 s[4:5], vcc
	s_cbranch_execz .LBB33_48
; %bb.50:                               ;   in Loop: Header=BB33_49 Depth=1
	s_mov_b64 s[6:7], 0
	v_mov_b32_e32 v6, v0
	v_mov_b32_e32 v3, v2
	;; [unrolled: 1-line block ×3, first 2 shown]
.LBB33_51:                              ;   Parent Loop BB33_49 Depth=1
                                        ; =>  This Inner Loop Header: Depth=2
	v_ashrrev_i32_e32 v4, 31, v3
	ds_read_b64 v[8:9], v6
	v_add_u32_e32 v7, 2, v7
	v_lshlrev_b64 v[10:11], 3, v[3:4]
	v_cmp_le_i32_e64 s[0:1], s17, v7
	v_mov_b32_e32 v12, s29
	s_or_b64 s[6:7], s[0:1], s[6:7]
	v_add_co_u32_e64 v10, s[0:1], s28, v10
	v_add_u32_e32 v6, s9, v6
	v_add_u32_e32 v3, s8, v3
	v_addc_co_u32_e64 v11, s[0:1], v12, v11, s[0:1]
	s_waitcnt lgkmcnt(0)
	flat_store_dwordx2 v[10:11], v[8:9]
	s_andn2_b64 exec, exec, s[6:7]
	s_cbranch_execnz .LBB33_51
	s_branch .LBB33_48
.LBB33_52:
	s_endpgm
	.section	.rodata,"a",@progbits
	.p2align	6, 0x0
	.amdhsa_kernel _ZN9rocsolver6v33100L18geqr2_kernel_smallILi256E19rocblas_complex_numIfEifPKPS3_EEvT1_S7_T3_lS7_lPT2_lPT0_l
		.amdhsa_group_segment_fixed_size 0
		.amdhsa_private_segment_fixed_size 0
		.amdhsa_kernarg_size 72
		.amdhsa_user_sgpr_count 6
		.amdhsa_user_sgpr_private_segment_buffer 1
		.amdhsa_user_sgpr_dispatch_ptr 0
		.amdhsa_user_sgpr_queue_ptr 0
		.amdhsa_user_sgpr_kernarg_segment_ptr 1
		.amdhsa_user_sgpr_dispatch_id 0
		.amdhsa_user_sgpr_flat_scratch_init 0
		.amdhsa_user_sgpr_private_segment_size 0
		.amdhsa_uses_dynamic_stack 0
		.amdhsa_system_sgpr_private_segment_wavefront_offset 0
		.amdhsa_system_sgpr_workgroup_id_x 1
		.amdhsa_system_sgpr_workgroup_id_y 0
		.amdhsa_system_sgpr_workgroup_id_z 1
		.amdhsa_system_sgpr_workgroup_info 0
		.amdhsa_system_vgpr_workitem_id 0
		.amdhsa_next_free_vgpr 32
		.amdhsa_next_free_sgpr 49
		.amdhsa_reserve_vcc 1
		.amdhsa_reserve_flat_scratch 0
		.amdhsa_float_round_mode_32 0
		.amdhsa_float_round_mode_16_64 0
		.amdhsa_float_denorm_mode_32 3
		.amdhsa_float_denorm_mode_16_64 3
		.amdhsa_dx10_clamp 1
		.amdhsa_ieee_mode 1
		.amdhsa_fp16_overflow 0
		.amdhsa_exception_fp_ieee_invalid_op 0
		.amdhsa_exception_fp_denorm_src 0
		.amdhsa_exception_fp_ieee_div_zero 0
		.amdhsa_exception_fp_ieee_overflow 0
		.amdhsa_exception_fp_ieee_underflow 0
		.amdhsa_exception_fp_ieee_inexact 0
		.amdhsa_exception_int_div_zero 0
	.end_amdhsa_kernel
	.section	.text._ZN9rocsolver6v33100L18geqr2_kernel_smallILi256E19rocblas_complex_numIfEifPKPS3_EEvT1_S7_T3_lS7_lPT2_lPT0_l,"axG",@progbits,_ZN9rocsolver6v33100L18geqr2_kernel_smallILi256E19rocblas_complex_numIfEifPKPS3_EEvT1_S7_T3_lS7_lPT2_lPT0_l,comdat
.Lfunc_end33:
	.size	_ZN9rocsolver6v33100L18geqr2_kernel_smallILi256E19rocblas_complex_numIfEifPKPS3_EEvT1_S7_T3_lS7_lPT2_lPT0_l, .Lfunc_end33-_ZN9rocsolver6v33100L18geqr2_kernel_smallILi256E19rocblas_complex_numIfEifPKPS3_EEvT1_S7_T3_lS7_lPT2_lPT0_l
                                        ; -- End function
	.set _ZN9rocsolver6v33100L18geqr2_kernel_smallILi256E19rocblas_complex_numIfEifPKPS3_EEvT1_S7_T3_lS7_lPT2_lPT0_l.num_vgpr, 32
	.set _ZN9rocsolver6v33100L18geqr2_kernel_smallILi256E19rocblas_complex_numIfEifPKPS3_EEvT1_S7_T3_lS7_lPT2_lPT0_l.num_agpr, 0
	.set _ZN9rocsolver6v33100L18geqr2_kernel_smallILi256E19rocblas_complex_numIfEifPKPS3_EEvT1_S7_T3_lS7_lPT2_lPT0_l.numbered_sgpr, 49
	.set _ZN9rocsolver6v33100L18geqr2_kernel_smallILi256E19rocblas_complex_numIfEifPKPS3_EEvT1_S7_T3_lS7_lPT2_lPT0_l.num_named_barrier, 0
	.set _ZN9rocsolver6v33100L18geqr2_kernel_smallILi256E19rocblas_complex_numIfEifPKPS3_EEvT1_S7_T3_lS7_lPT2_lPT0_l.private_seg_size, 0
	.set _ZN9rocsolver6v33100L18geqr2_kernel_smallILi256E19rocblas_complex_numIfEifPKPS3_EEvT1_S7_T3_lS7_lPT2_lPT0_l.uses_vcc, 1
	.set _ZN9rocsolver6v33100L18geqr2_kernel_smallILi256E19rocblas_complex_numIfEifPKPS3_EEvT1_S7_T3_lS7_lPT2_lPT0_l.uses_flat_scratch, 0
	.set _ZN9rocsolver6v33100L18geqr2_kernel_smallILi256E19rocblas_complex_numIfEifPKPS3_EEvT1_S7_T3_lS7_lPT2_lPT0_l.has_dyn_sized_stack, 0
	.set _ZN9rocsolver6v33100L18geqr2_kernel_smallILi256E19rocblas_complex_numIfEifPKPS3_EEvT1_S7_T3_lS7_lPT2_lPT0_l.has_recursion, 0
	.set _ZN9rocsolver6v33100L18geqr2_kernel_smallILi256E19rocblas_complex_numIfEifPKPS3_EEvT1_S7_T3_lS7_lPT2_lPT0_l.has_indirect_call, 0
	.section	.AMDGPU.csdata,"",@progbits
; Kernel info:
; codeLenInByte = 2700
; TotalNumSgprs: 53
; NumVgprs: 32
; ScratchSize: 0
; MemoryBound: 0
; FloatMode: 240
; IeeeMode: 1
; LDSByteSize: 0 bytes/workgroup (compile time only)
; SGPRBlocks: 6
; VGPRBlocks: 7
; NumSGPRsForWavesPerEU: 53
; NumVGPRsForWavesPerEU: 32
; Occupancy: 8
; WaveLimiterHint : 1
; COMPUTE_PGM_RSRC2:SCRATCH_EN: 0
; COMPUTE_PGM_RSRC2:USER_SGPR: 6
; COMPUTE_PGM_RSRC2:TRAP_HANDLER: 0
; COMPUTE_PGM_RSRC2:TGID_X_EN: 1
; COMPUTE_PGM_RSRC2:TGID_Y_EN: 0
; COMPUTE_PGM_RSRC2:TGID_Z_EN: 1
; COMPUTE_PGM_RSRC2:TIDIG_COMP_CNT: 0
	.section	.text._ZN9rocsolver6v33100L16reset_batch_infoI19rocblas_complex_numIfEiiPS3_EEvT2_lT0_T1_,"axG",@progbits,_ZN9rocsolver6v33100L16reset_batch_infoI19rocblas_complex_numIfEiiPS3_EEvT2_lT0_T1_,comdat
	.globl	_ZN9rocsolver6v33100L16reset_batch_infoI19rocblas_complex_numIfEiiPS3_EEvT2_lT0_T1_ ; -- Begin function _ZN9rocsolver6v33100L16reset_batch_infoI19rocblas_complex_numIfEiiPS3_EEvT2_lT0_T1_
	.p2align	8
	.type	_ZN9rocsolver6v33100L16reset_batch_infoI19rocblas_complex_numIfEiiPS3_EEvT2_lT0_T1_,@function
_ZN9rocsolver6v33100L16reset_batch_infoI19rocblas_complex_numIfEiiPS3_EEvT2_lT0_T1_: ; @_ZN9rocsolver6v33100L16reset_batch_infoI19rocblas_complex_numIfEiiPS3_EEvT2_lT0_T1_
; %bb.0:
	s_load_dword s2, s[4:5], 0x24
	s_load_dwordx2 s[0:1], s[4:5], 0x10
	s_waitcnt lgkmcnt(0)
	s_and_b32 s2, s2, 0xffff
	s_mul_i32 s6, s6, s2
	v_add_u32_e32 v0, s6, v0
	v_cmp_gt_i32_e32 vcc, s0, v0
	s_and_saveexec_b64 s[2:3], vcc
	s_cbranch_execz .LBB34_2
; %bb.1:
	s_load_dwordx4 s[8:11], s[4:5], 0x0
	s_ashr_i32 s0, s7, 31
	v_ashrrev_i32_e32 v1, 31, v0
	v_lshlrev_b64 v[0:1], 3, v[0:1]
	v_cvt_f32_i32_e32 v2, s1
	s_waitcnt lgkmcnt(0)
	s_mul_hi_u32 s3, s10, s7
	s_mul_i32 s0, s10, s0
	s_mul_i32 s4, s11, s7
	s_add_i32 s0, s3, s0
	s_mul_i32 s2, s10, s7
	s_add_i32 s3, s0, s4
	s_lshl_b64 s[2:3], s[2:3], 3
	s_add_u32 s0, s8, s2
	s_addc_u32 s2, s9, s3
	v_mov_b32_e32 v3, s2
	v_add_co_u32_e32 v0, vcc, s0, v0
	v_addc_co_u32_e32 v1, vcc, v3, v1, vcc
	v_mov_b32_e32 v3, 0
	global_store_dwordx2 v[0:1], v[2:3], off
.LBB34_2:
	s_endpgm
	.section	.rodata,"a",@progbits
	.p2align	6, 0x0
	.amdhsa_kernel _ZN9rocsolver6v33100L16reset_batch_infoI19rocblas_complex_numIfEiiPS3_EEvT2_lT0_T1_
		.amdhsa_group_segment_fixed_size 0
		.amdhsa_private_segment_fixed_size 0
		.amdhsa_kernarg_size 280
		.amdhsa_user_sgpr_count 6
		.amdhsa_user_sgpr_private_segment_buffer 1
		.amdhsa_user_sgpr_dispatch_ptr 0
		.amdhsa_user_sgpr_queue_ptr 0
		.amdhsa_user_sgpr_kernarg_segment_ptr 1
		.amdhsa_user_sgpr_dispatch_id 0
		.amdhsa_user_sgpr_flat_scratch_init 0
		.amdhsa_user_sgpr_private_segment_size 0
		.amdhsa_uses_dynamic_stack 0
		.amdhsa_system_sgpr_private_segment_wavefront_offset 0
		.amdhsa_system_sgpr_workgroup_id_x 1
		.amdhsa_system_sgpr_workgroup_id_y 1
		.amdhsa_system_sgpr_workgroup_id_z 0
		.amdhsa_system_sgpr_workgroup_info 0
		.amdhsa_system_vgpr_workitem_id 0
		.amdhsa_next_free_vgpr 4
		.amdhsa_next_free_sgpr 12
		.amdhsa_reserve_vcc 1
		.amdhsa_reserve_flat_scratch 0
		.amdhsa_float_round_mode_32 0
		.amdhsa_float_round_mode_16_64 0
		.amdhsa_float_denorm_mode_32 3
		.amdhsa_float_denorm_mode_16_64 3
		.amdhsa_dx10_clamp 1
		.amdhsa_ieee_mode 1
		.amdhsa_fp16_overflow 0
		.amdhsa_exception_fp_ieee_invalid_op 0
		.amdhsa_exception_fp_denorm_src 0
		.amdhsa_exception_fp_ieee_div_zero 0
		.amdhsa_exception_fp_ieee_overflow 0
		.amdhsa_exception_fp_ieee_underflow 0
		.amdhsa_exception_fp_ieee_inexact 0
		.amdhsa_exception_int_div_zero 0
	.end_amdhsa_kernel
	.section	.text._ZN9rocsolver6v33100L16reset_batch_infoI19rocblas_complex_numIfEiiPS3_EEvT2_lT0_T1_,"axG",@progbits,_ZN9rocsolver6v33100L16reset_batch_infoI19rocblas_complex_numIfEiiPS3_EEvT2_lT0_T1_,comdat
.Lfunc_end34:
	.size	_ZN9rocsolver6v33100L16reset_batch_infoI19rocblas_complex_numIfEiiPS3_EEvT2_lT0_T1_, .Lfunc_end34-_ZN9rocsolver6v33100L16reset_batch_infoI19rocblas_complex_numIfEiiPS3_EEvT2_lT0_T1_
                                        ; -- End function
	.set _ZN9rocsolver6v33100L16reset_batch_infoI19rocblas_complex_numIfEiiPS3_EEvT2_lT0_T1_.num_vgpr, 4
	.set _ZN9rocsolver6v33100L16reset_batch_infoI19rocblas_complex_numIfEiiPS3_EEvT2_lT0_T1_.num_agpr, 0
	.set _ZN9rocsolver6v33100L16reset_batch_infoI19rocblas_complex_numIfEiiPS3_EEvT2_lT0_T1_.numbered_sgpr, 12
	.set _ZN9rocsolver6v33100L16reset_batch_infoI19rocblas_complex_numIfEiiPS3_EEvT2_lT0_T1_.num_named_barrier, 0
	.set _ZN9rocsolver6v33100L16reset_batch_infoI19rocblas_complex_numIfEiiPS3_EEvT2_lT0_T1_.private_seg_size, 0
	.set _ZN9rocsolver6v33100L16reset_batch_infoI19rocblas_complex_numIfEiiPS3_EEvT2_lT0_T1_.uses_vcc, 1
	.set _ZN9rocsolver6v33100L16reset_batch_infoI19rocblas_complex_numIfEiiPS3_EEvT2_lT0_T1_.uses_flat_scratch, 0
	.set _ZN9rocsolver6v33100L16reset_batch_infoI19rocblas_complex_numIfEiiPS3_EEvT2_lT0_T1_.has_dyn_sized_stack, 0
	.set _ZN9rocsolver6v33100L16reset_batch_infoI19rocblas_complex_numIfEiiPS3_EEvT2_lT0_T1_.has_recursion, 0
	.set _ZN9rocsolver6v33100L16reset_batch_infoI19rocblas_complex_numIfEiiPS3_EEvT2_lT0_T1_.has_indirect_call, 0
	.section	.AMDGPU.csdata,"",@progbits
; Kernel info:
; codeLenInByte = 144
; TotalNumSgprs: 16
; NumVgprs: 4
; ScratchSize: 0
; MemoryBound: 0
; FloatMode: 240
; IeeeMode: 1
; LDSByteSize: 0 bytes/workgroup (compile time only)
; SGPRBlocks: 1
; VGPRBlocks: 0
; NumSGPRsForWavesPerEU: 16
; NumVGPRsForWavesPerEU: 4
; Occupancy: 10
; WaveLimiterHint : 0
; COMPUTE_PGM_RSRC2:SCRATCH_EN: 0
; COMPUTE_PGM_RSRC2:USER_SGPR: 6
; COMPUTE_PGM_RSRC2:TRAP_HANDLER: 0
; COMPUTE_PGM_RSRC2:TGID_X_EN: 1
; COMPUTE_PGM_RSRC2:TGID_Y_EN: 1
; COMPUTE_PGM_RSRC2:TGID_Z_EN: 0
; COMPUTE_PGM_RSRC2:TIDIG_COMP_CNT: 0
	.section	.text._ZN9rocsolver6v33100L8set_diagI19rocblas_complex_numIfEifPKPS3_TnNSt9enable_ifIXaa18rocblas_is_complexIT_Ent18rocblas_is_complexIT1_EEiE4typeELi0EEEvPS9_llT2_lT0_lSE_b,"axG",@progbits,_ZN9rocsolver6v33100L8set_diagI19rocblas_complex_numIfEifPKPS3_TnNSt9enable_ifIXaa18rocblas_is_complexIT_Ent18rocblas_is_complexIT1_EEiE4typeELi0EEEvPS9_llT2_lT0_lSE_b,comdat
	.globl	_ZN9rocsolver6v33100L8set_diagI19rocblas_complex_numIfEifPKPS3_TnNSt9enable_ifIXaa18rocblas_is_complexIT_Ent18rocblas_is_complexIT1_EEiE4typeELi0EEEvPS9_llT2_lT0_lSE_b ; -- Begin function _ZN9rocsolver6v33100L8set_diagI19rocblas_complex_numIfEifPKPS3_TnNSt9enable_ifIXaa18rocblas_is_complexIT_Ent18rocblas_is_complexIT1_EEiE4typeELi0EEEvPS9_llT2_lT0_lSE_b
	.p2align	8
	.type	_ZN9rocsolver6v33100L8set_diagI19rocblas_complex_numIfEifPKPS3_TnNSt9enable_ifIXaa18rocblas_is_complexIT_Ent18rocblas_is_complexIT1_EEiE4typeELi0EEEvPS9_llT2_lT0_lSE_b,@function
_ZN9rocsolver6v33100L8set_diagI19rocblas_complex_numIfEifPKPS3_TnNSt9enable_ifIXaa18rocblas_is_complexIT_Ent18rocblas_is_complexIT1_EEiE4typeELi0EEEvPS9_llT2_lT0_lSE_b: ; @_ZN9rocsolver6v33100L8set_diagI19rocblas_complex_numIfEifPKPS3_TnNSt9enable_ifIXaa18rocblas_is_complexIT_Ent18rocblas_is_complexIT1_EEiE4typeELi0EEEvPS9_llT2_lT0_lSE_b
; %bb.0:
	s_load_dword s2, s[4:5], 0x4c
	s_load_dwordx2 s[0:1], s[4:5], 0x38
	s_waitcnt lgkmcnt(0)
	s_lshr_b32 s2, s2, 16
	s_mul_i32 s7, s7, s2
	v_add_u32_e32 v0, s7, v1
	v_cmp_gt_i32_e32 vcc, s0, v0
	s_and_saveexec_b64 s[2:3], vcc
	s_cbranch_execz .LBB35_5
; %bb.1:
	s_load_dwordx8 s[8:15], s[4:5], 0x0
	s_load_dwordx2 s[2:3], s[4:5], 0x20
	s_load_dword s16, s[4:5], 0x28
	s_bitcmp1_b32 s1, 0
	s_cselect_b64 s[0:1], -1, 0
	s_ashr_i32 s7, s6, 31
	s_lshl_b64 s[4:5], s[6:7], 3
	s_waitcnt lgkmcnt(0)
	s_add_u32 s4, s14, s4
	s_addc_u32 s5, s15, s5
	s_load_dwordx2 s[4:5], s[4:5], 0x0
	v_mad_u64_u32 v[1:2], s[14:15], v0, s16, v[0:1]
	s_lshl_b64 s[2:3], s[2:3], 3
	v_ashrrev_i32_e32 v2, 31, v1
	s_waitcnt lgkmcnt(0)
	s_add_u32 s2, s4, s2
	v_lshlrev_b64 v[2:3], 3, v[1:2]
	s_addc_u32 s3, s5, s3
	v_mov_b32_e32 v1, s3
	v_add_co_u32_e32 v2, vcc, s2, v2
	v_addc_co_u32_e32 v3, vcc, v1, v3, vcc
	flat_load_dword v4, v[2:3]
	s_mul_hi_u32 s3, s12, s6
	s_mul_i32 s4, s12, s7
	s_mul_i32 s5, s13, s6
	s_add_i32 s3, s3, s4
	s_mul_i32 s2, s12, s6
	s_add_i32 s3, s3, s5
	s_lshl_b64 s[2:3], s[2:3], 2
	s_add_u32 s4, s8, s2
	v_ashrrev_i32_e32 v1, 31, v0
	s_addc_u32 s5, s9, s3
	s_lshl_b64 s[2:3], s[10:11], 2
	v_lshlrev_b64 v[0:1], 2, v[0:1]
	s_add_u32 s2, s4, s2
	s_addc_u32 s3, s5, s3
	s_and_b64 vcc, exec, s[0:1]
	v_mov_b32_e32 v5, s3
	v_add_co_u32_e64 v0, s[0:1], s2, v0
	v_addc_co_u32_e64 v1, s[0:1], v5, v1, s[0:1]
	s_waitcnt vmcnt(0) lgkmcnt(0)
	global_store_dword v[0:1], v4, off
	s_cbranch_vccnz .LBB35_3
; %bb.2:
	flat_load_dword v5, v[2:3] offset:4
	s_branch .LBB35_4
.LBB35_3:
	v_mov_b32_e32 v4, 1.0
	v_mov_b32_e32 v5, 0
.LBB35_4:
	s_waitcnt vmcnt(0) lgkmcnt(0)
	flat_store_dwordx2 v[2:3], v[4:5]
.LBB35_5:
	s_endpgm
	.section	.rodata,"a",@progbits
	.p2align	6, 0x0
	.amdhsa_kernel _ZN9rocsolver6v33100L8set_diagI19rocblas_complex_numIfEifPKPS3_TnNSt9enable_ifIXaa18rocblas_is_complexIT_Ent18rocblas_is_complexIT1_EEiE4typeELi0EEEvPS9_llT2_lT0_lSE_b
		.amdhsa_group_segment_fixed_size 0
		.amdhsa_private_segment_fixed_size 0
		.amdhsa_kernarg_size 320
		.amdhsa_user_sgpr_count 6
		.amdhsa_user_sgpr_private_segment_buffer 1
		.amdhsa_user_sgpr_dispatch_ptr 0
		.amdhsa_user_sgpr_queue_ptr 0
		.amdhsa_user_sgpr_kernarg_segment_ptr 1
		.amdhsa_user_sgpr_dispatch_id 0
		.amdhsa_user_sgpr_flat_scratch_init 0
		.amdhsa_user_sgpr_private_segment_size 0
		.amdhsa_uses_dynamic_stack 0
		.amdhsa_system_sgpr_private_segment_wavefront_offset 0
		.amdhsa_system_sgpr_workgroup_id_x 1
		.amdhsa_system_sgpr_workgroup_id_y 1
		.amdhsa_system_sgpr_workgroup_id_z 0
		.amdhsa_system_sgpr_workgroup_info 0
		.amdhsa_system_vgpr_workitem_id 1
		.amdhsa_next_free_vgpr 6
		.amdhsa_next_free_sgpr 17
		.amdhsa_reserve_vcc 1
		.amdhsa_reserve_flat_scratch 0
		.amdhsa_float_round_mode_32 0
		.amdhsa_float_round_mode_16_64 0
		.amdhsa_float_denorm_mode_32 3
		.amdhsa_float_denorm_mode_16_64 3
		.amdhsa_dx10_clamp 1
		.amdhsa_ieee_mode 1
		.amdhsa_fp16_overflow 0
		.amdhsa_exception_fp_ieee_invalid_op 0
		.amdhsa_exception_fp_denorm_src 0
		.amdhsa_exception_fp_ieee_div_zero 0
		.amdhsa_exception_fp_ieee_overflow 0
		.amdhsa_exception_fp_ieee_underflow 0
		.amdhsa_exception_fp_ieee_inexact 0
		.amdhsa_exception_int_div_zero 0
	.end_amdhsa_kernel
	.section	.text._ZN9rocsolver6v33100L8set_diagI19rocblas_complex_numIfEifPKPS3_TnNSt9enable_ifIXaa18rocblas_is_complexIT_Ent18rocblas_is_complexIT1_EEiE4typeELi0EEEvPS9_llT2_lT0_lSE_b,"axG",@progbits,_ZN9rocsolver6v33100L8set_diagI19rocblas_complex_numIfEifPKPS3_TnNSt9enable_ifIXaa18rocblas_is_complexIT_Ent18rocblas_is_complexIT1_EEiE4typeELi0EEEvPS9_llT2_lT0_lSE_b,comdat
.Lfunc_end35:
	.size	_ZN9rocsolver6v33100L8set_diagI19rocblas_complex_numIfEifPKPS3_TnNSt9enable_ifIXaa18rocblas_is_complexIT_Ent18rocblas_is_complexIT1_EEiE4typeELi0EEEvPS9_llT2_lT0_lSE_b, .Lfunc_end35-_ZN9rocsolver6v33100L8set_diagI19rocblas_complex_numIfEifPKPS3_TnNSt9enable_ifIXaa18rocblas_is_complexIT_Ent18rocblas_is_complexIT1_EEiE4typeELi0EEEvPS9_llT2_lT0_lSE_b
                                        ; -- End function
	.set _ZN9rocsolver6v33100L8set_diagI19rocblas_complex_numIfEifPKPS3_TnNSt9enable_ifIXaa18rocblas_is_complexIT_Ent18rocblas_is_complexIT1_EEiE4typeELi0EEEvPS9_llT2_lT0_lSE_b.num_vgpr, 6
	.set _ZN9rocsolver6v33100L8set_diagI19rocblas_complex_numIfEifPKPS3_TnNSt9enable_ifIXaa18rocblas_is_complexIT_Ent18rocblas_is_complexIT1_EEiE4typeELi0EEEvPS9_llT2_lT0_lSE_b.num_agpr, 0
	.set _ZN9rocsolver6v33100L8set_diagI19rocblas_complex_numIfEifPKPS3_TnNSt9enable_ifIXaa18rocblas_is_complexIT_Ent18rocblas_is_complexIT1_EEiE4typeELi0EEEvPS9_llT2_lT0_lSE_b.numbered_sgpr, 17
	.set _ZN9rocsolver6v33100L8set_diagI19rocblas_complex_numIfEifPKPS3_TnNSt9enable_ifIXaa18rocblas_is_complexIT_Ent18rocblas_is_complexIT1_EEiE4typeELi0EEEvPS9_llT2_lT0_lSE_b.num_named_barrier, 0
	.set _ZN9rocsolver6v33100L8set_diagI19rocblas_complex_numIfEifPKPS3_TnNSt9enable_ifIXaa18rocblas_is_complexIT_Ent18rocblas_is_complexIT1_EEiE4typeELi0EEEvPS9_llT2_lT0_lSE_b.private_seg_size, 0
	.set _ZN9rocsolver6v33100L8set_diagI19rocblas_complex_numIfEifPKPS3_TnNSt9enable_ifIXaa18rocblas_is_complexIT_Ent18rocblas_is_complexIT1_EEiE4typeELi0EEEvPS9_llT2_lT0_lSE_b.uses_vcc, 1
	.set _ZN9rocsolver6v33100L8set_diagI19rocblas_complex_numIfEifPKPS3_TnNSt9enable_ifIXaa18rocblas_is_complexIT_Ent18rocblas_is_complexIT1_EEiE4typeELi0EEEvPS9_llT2_lT0_lSE_b.uses_flat_scratch, 0
	.set _ZN9rocsolver6v33100L8set_diagI19rocblas_complex_numIfEifPKPS3_TnNSt9enable_ifIXaa18rocblas_is_complexIT_Ent18rocblas_is_complexIT1_EEiE4typeELi0EEEvPS9_llT2_lT0_lSE_b.has_dyn_sized_stack, 0
	.set _ZN9rocsolver6v33100L8set_diagI19rocblas_complex_numIfEifPKPS3_TnNSt9enable_ifIXaa18rocblas_is_complexIT_Ent18rocblas_is_complexIT1_EEiE4typeELi0EEEvPS9_llT2_lT0_lSE_b.has_recursion, 0
	.set _ZN9rocsolver6v33100L8set_diagI19rocblas_complex_numIfEifPKPS3_TnNSt9enable_ifIXaa18rocblas_is_complexIT_Ent18rocblas_is_complexIT1_EEiE4typeELi0EEEvPS9_llT2_lT0_lSE_b.has_indirect_call, 0
	.section	.AMDGPU.csdata,"",@progbits
; Kernel info:
; codeLenInByte = 296
; TotalNumSgprs: 21
; NumVgprs: 6
; ScratchSize: 0
; MemoryBound: 0
; FloatMode: 240
; IeeeMode: 1
; LDSByteSize: 0 bytes/workgroup (compile time only)
; SGPRBlocks: 2
; VGPRBlocks: 1
; NumSGPRsForWavesPerEU: 21
; NumVGPRsForWavesPerEU: 6
; Occupancy: 10
; WaveLimiterHint : 1
; COMPUTE_PGM_RSRC2:SCRATCH_EN: 0
; COMPUTE_PGM_RSRC2:USER_SGPR: 6
; COMPUTE_PGM_RSRC2:TRAP_HANDLER: 0
; COMPUTE_PGM_RSRC2:TGID_X_EN: 1
; COMPUTE_PGM_RSRC2:TGID_Y_EN: 1
; COMPUTE_PGM_RSRC2:TGID_Z_EN: 0
; COMPUTE_PGM_RSRC2:TIDIG_COMP_CNT: 1
	.section	.text._ZN9rocsolver6v33100L11set_taubetaI19rocblas_complex_numIfEifPKPS3_EEvPT_lS8_T2_llPT1_ll,"axG",@progbits,_ZN9rocsolver6v33100L11set_taubetaI19rocblas_complex_numIfEifPKPS3_EEvPT_lS8_T2_llPT1_ll,comdat
	.globl	_ZN9rocsolver6v33100L11set_taubetaI19rocblas_complex_numIfEifPKPS3_EEvPT_lS8_T2_llPT1_ll ; -- Begin function _ZN9rocsolver6v33100L11set_taubetaI19rocblas_complex_numIfEifPKPS3_EEvPT_lS8_T2_llPT1_ll
	.p2align	8
	.type	_ZN9rocsolver6v33100L11set_taubetaI19rocblas_complex_numIfEifPKPS3_EEvPT_lS8_T2_llPT1_ll,@function
_ZN9rocsolver6v33100L11set_taubetaI19rocblas_complex_numIfEifPKPS3_EEvPT_lS8_T2_llPT1_ll: ; @_ZN9rocsolver6v33100L11set_taubetaI19rocblas_complex_numIfEifPKPS3_EEvPT_lS8_T2_llPT1_ll
; %bb.0:
	s_load_dwordx8 s[8:15], s[4:5], 0x0
	s_load_dwordx2 s[22:23], s[4:5], 0x20
	s_load_dwordx4 s[0:3], s[4:5], 0x30
	s_ashr_i32 s7, s6, 31
	s_lshl_b64 s[20:21], s[6:7], 3
	s_waitcnt lgkmcnt(0)
	s_add_u32 s14, s14, s20
	s_addc_u32 s15, s15, s21
	s_load_dwordx2 s[14:15], s[14:15], 0x0
	s_mov_b64 s[16:17], 0
	s_cmp_eq_u64 s[0:1], 0
	s_mov_b64 s[18:19], 0
	s_cbranch_scc1 .LBB36_2
; %bb.1:
	s_load_dwordx2 s[4:5], s[4:5], 0x40
	s_waitcnt lgkmcnt(0)
	s_mul_i32 s18, s4, s7
	s_mul_hi_u32 s19, s4, s6
	s_mul_i32 s5, s5, s6
	s_add_i32 s18, s19, s18
	s_mul_i32 s4, s4, s6
	s_add_i32 s5, s18, s5
	s_lshl_b64 s[4:5], s[4:5], 2
	s_add_u32 s4, s0, s4
	s_addc_u32 s5, s1, s5
	s_lshl_b64 s[0:1], s[2:3], 2
	s_add_u32 s18, s4, s0
	s_addc_u32 s19, s5, s1
.LBB36_2:
	s_lshl_b64 s[0:1], s[22:23], 3
	s_waitcnt lgkmcnt(0)
	s_add_u32 s14, s14, s0
	s_addc_u32 s15, s15, s1
	v_mov_b32_e32 v0, s14
	v_mov_b32_e32 v1, s15
	flat_load_dword v0, v[0:1] offset:4
	s_mul_i32 s1, s10, s7
	s_mul_hi_u32 s2, s10, s6
	s_mul_i32 s3, s11, s6
	s_add_i32 s1, s2, s1
	s_mul_i32 s0, s10, s6
	s_add_i32 s1, s1, s3
	s_lshl_b64 s[0:1], s[0:1], 3
	s_add_u32 s6, s8, s0
	s_addc_u32 s7, s9, s1
	s_add_u32 s8, s12, s20
	s_addc_u32 s9, s13, s21
	s_load_dword s4, s[8:9], 0x0
	s_cmp_lg_u64 s[18:19], 0
	s_cselect_b64 s[10:11], -1, 0
	s_waitcnt lgkmcnt(0)
	v_max_f32_e64 v2, s4, s4
	s_waitcnt vmcnt(0)
	v_mul_f32_e32 v1, v0, v0
	v_max_f32_e32 v2, v2, v1
	v_cmp_nlt_f32_e32 vcc, 0, v2
	s_and_saveexec_b64 s[0:1], vcc
	s_xor_b64 s[0:1], exec, s[0:1]
	s_cbranch_execz .LBB36_7
; %bb.3:
	v_mov_b32_e32 v1, 0
	v_mov_b32_e32 v0, 1.0
	v_mov_b32_e32 v2, v1
	v_mov_b32_e32 v3, v1
	s_and_b64 vcc, exec, s[10:11]
	global_store_dwordx2 v1, v[0:1], s[8:9]
	global_store_dwordx2 v1, v[2:3], s[6:7]
	s_cbranch_vccz .LBB36_13
; %bb.4:
	v_mov_b32_e32 v2, s14
	v_mov_b32_e32 v3, s15
	flat_load_dword v4, v[2:3]
	s_mov_b64 s[2:3], -1
	s_waitcnt vmcnt(0) lgkmcnt(0)
	global_store_dword v1, v4, s[18:19]
	flat_store_dword v[2:3], v0
	s_and_b64 s[16:17], s[2:3], exec
                                        ; implicit-def: $vgpr1
                                        ; implicit-def: $vgpr0
	s_andn2_saveexec_b64 s[12:13], s[0:1]
	s_cbranch_execnz .LBB36_8
.LBB36_5:
	s_or_b64 exec, exec, s[12:13]
	s_and_saveexec_b64 s[0:1], s[16:17]
	s_cbranch_execz .LBB36_12
.LBB36_6:
	v_mov_b32_e32 v0, s14
	v_mov_b32_e32 v2, 0
	v_mov_b32_e32 v1, s15
	flat_store_dword v[0:1], v2 offset:4
	s_endpgm
.LBB36_7:
	s_andn2_saveexec_b64 s[12:13], s[0:1]
	s_cbranch_execz .LBB36_5
.LBB36_8:
	v_mov_b32_e32 v2, s14
	v_mov_b32_e32 v3, s15
	flat_load_dword v3, v[2:3]
	s_mov_b32 s0, 0xf800000
	v_mov_b32_e32 v5, 0x260
	s_waitcnt vmcnt(0) lgkmcnt(0)
	v_fma_f32 v2, v3, v3, v1
	v_add_f32_e32 v2, s4, v2
	v_mul_f32_e32 v4, 0x4f800000, v2
	v_cmp_gt_f32_e32 vcc, s0, v2
	v_cndmask_b32_e32 v2, v2, v4, vcc
	v_sqrt_f32_e32 v4, v2
	v_add_u32_e32 v6, -1, v4
	v_add_u32_e32 v7, 1, v4
	v_fma_f32 v8, -v6, v4, v2
	v_fma_f32 v9, -v7, v4, v2
	v_cmp_ge_f32_e64 s[0:1], 0, v8
	v_cndmask_b32_e64 v4, v4, v6, s[0:1]
	v_cmp_lt_f32_e64 s[0:1], 0, v9
	v_cndmask_b32_e64 v4, v4, v7, s[0:1]
	v_mul_f32_e32 v6, 0x37800000, v4
	v_cndmask_b32_e32 v4, v4, v6, vcc
	v_cmp_class_f32_e32 vcc, v2, v5
	v_cndmask_b32_e32 v2, v4, v2, vcc
	v_cmp_le_f32_e32 vcc, 0, v3
	v_cndmask_b32_e64 v2, v2, -v2, vcc
	v_sub_f32_e32 v4, v3, v2
	v_sub_f32_e32 v6, v2, v3
	v_div_scale_f32 v3, s[0:1], v2, v2, -v0
	v_fmac_f32_e32 v1, v4, v4
	v_div_scale_f32 v5, s[0:1], v2, v2, v6
	v_div_scale_f32 v7, s[0:1], v1, v1, v4
	v_div_scale_f32 v8, s[0:1], v1, v1, -v0
	v_div_scale_f32 v9, s[0:1], -v0, v2, -v0
	v_div_scale_f32 v10, s[2:3], v6, v2, v6
	v_div_scale_f32 v11, vcc, v4, v1, v4
	v_div_scale_f32 v12, s[4:5], -v0, v1, -v0
	v_rcp_f32_e32 v13, v3
	v_rcp_f32_e32 v14, v5
	;; [unrolled: 1-line block ×3, first 2 shown]
	v_fma_f32 v17, -v3, v13, 1.0
	v_rcp_f32_e32 v16, v8
	v_fma_f32 v18, -v5, v14, 1.0
	v_fmac_f32_e32 v13, v17, v13
	v_fma_f32 v17, -v7, v15, 1.0
	v_fma_f32 v19, -v8, v16, 1.0
	v_fmac_f32_e32 v14, v18, v14
	v_mul_f32_e32 v18, v9, v13
	v_fmac_f32_e32 v15, v17, v15
	v_fmac_f32_e32 v16, v19, v16
	v_mul_f32_e32 v17, v10, v14
	v_fma_f32 v19, -v3, v18, v9
	v_fmac_f32_e32 v18, v19, v13
	v_fma_f32 v19, -v5, v17, v10
	v_fmac_f32_e32 v17, v19, v14
	v_mul_f32_e32 v19, v11, v15
	v_fma_f32 v3, -v3, v18, v9
	v_fma_f32 v9, -v7, v19, v11
	v_fmac_f32_e32 v19, v9, v15
	v_mul_f32_e32 v9, v12, v16
	v_fma_f32 v20, -v8, v9, v12
	v_fmac_f32_e32 v9, v20, v16
	v_fma_f32 v7, -v7, v19, v11
	v_fma_f32 v8, -v8, v9, v12
	v_div_fmas_f32 v7, v7, v15, v19
	s_mov_b64 vcc, s[4:5]
	v_fma_f32 v5, -v5, v17, v10
	v_div_fmas_f32 v8, v8, v16, v9
	s_mov_b64 vcc, s[2:3]
	v_div_fmas_f32 v9, v5, v14, v17
	s_mov_b64 vcc, s[0:1]
	v_div_fmas_f32 v10, v3, v13, v18
	v_mov_b32_e32 v3, 0
	s_and_b64 vcc, exec, s[10:11]
	v_div_fixup_f32 v4, v7, v1, v4
	v_div_fixup_f32 v5, v8, v1, -v0
	global_store_dwordx2 v3, v[4:5], s[8:9]
	v_div_fixup_f32 v4, v9, v2, v6
	v_div_fixup_f32 v5, v10, v2, -v0
	global_store_dwordx2 v3, v[4:5], s[6:7]
	s_cbranch_vccz .LBB36_14
; %bb.9:
	v_mov_b32_e32 v0, s14
	global_store_dword v3, v2, s[18:19]
	v_mov_b32_e32 v3, 1.0
	v_mov_b32_e32 v1, s15
	flat_store_dword v[0:1], v3
	s_cbranch_execnz .LBB36_11
.LBB36_10:
	v_mov_b32_e32 v0, s14
	v_mov_b32_e32 v1, s15
	flat_store_dword v[0:1], v2
.LBB36_11:
	s_or_b64 s[16:17], s[16:17], exec
	s_or_b64 exec, exec, s[12:13]
	s_and_saveexec_b64 s[0:1], s[16:17]
	s_cbranch_execnz .LBB36_6
.LBB36_12:
	s_endpgm
.LBB36_13:
	s_mov_b64 s[2:3], 0
	s_and_b64 s[16:17], s[2:3], exec
                                        ; implicit-def: $vgpr1
                                        ; implicit-def: $vgpr0
	s_andn2_saveexec_b64 s[12:13], s[0:1]
	s_cbranch_execz .LBB36_5
	s_branch .LBB36_8
.LBB36_14:
	s_branch .LBB36_10
	.section	.rodata,"a",@progbits
	.p2align	6, 0x0
	.amdhsa_kernel _ZN9rocsolver6v33100L11set_taubetaI19rocblas_complex_numIfEifPKPS3_EEvPT_lS8_T2_llPT1_ll
		.amdhsa_group_segment_fixed_size 0
		.amdhsa_private_segment_fixed_size 0
		.amdhsa_kernarg_size 72
		.amdhsa_user_sgpr_count 6
		.amdhsa_user_sgpr_private_segment_buffer 1
		.amdhsa_user_sgpr_dispatch_ptr 0
		.amdhsa_user_sgpr_queue_ptr 0
		.amdhsa_user_sgpr_kernarg_segment_ptr 1
		.amdhsa_user_sgpr_dispatch_id 0
		.amdhsa_user_sgpr_flat_scratch_init 0
		.amdhsa_user_sgpr_private_segment_size 0
		.amdhsa_uses_dynamic_stack 0
		.amdhsa_system_sgpr_private_segment_wavefront_offset 0
		.amdhsa_system_sgpr_workgroup_id_x 1
		.amdhsa_system_sgpr_workgroup_id_y 0
		.amdhsa_system_sgpr_workgroup_id_z 0
		.amdhsa_system_sgpr_workgroup_info 0
		.amdhsa_system_vgpr_workitem_id 0
		.amdhsa_next_free_vgpr 21
		.amdhsa_next_free_sgpr 24
		.amdhsa_reserve_vcc 1
		.amdhsa_reserve_flat_scratch 0
		.amdhsa_float_round_mode_32 0
		.amdhsa_float_round_mode_16_64 0
		.amdhsa_float_denorm_mode_32 3
		.amdhsa_float_denorm_mode_16_64 3
		.amdhsa_dx10_clamp 1
		.amdhsa_ieee_mode 1
		.amdhsa_fp16_overflow 0
		.amdhsa_exception_fp_ieee_invalid_op 0
		.amdhsa_exception_fp_denorm_src 0
		.amdhsa_exception_fp_ieee_div_zero 0
		.amdhsa_exception_fp_ieee_overflow 0
		.amdhsa_exception_fp_ieee_underflow 0
		.amdhsa_exception_fp_ieee_inexact 0
		.amdhsa_exception_int_div_zero 0
	.end_amdhsa_kernel
	.section	.text._ZN9rocsolver6v33100L11set_taubetaI19rocblas_complex_numIfEifPKPS3_EEvPT_lS8_T2_llPT1_ll,"axG",@progbits,_ZN9rocsolver6v33100L11set_taubetaI19rocblas_complex_numIfEifPKPS3_EEvPT_lS8_T2_llPT1_ll,comdat
.Lfunc_end36:
	.size	_ZN9rocsolver6v33100L11set_taubetaI19rocblas_complex_numIfEifPKPS3_EEvPT_lS8_T2_llPT1_ll, .Lfunc_end36-_ZN9rocsolver6v33100L11set_taubetaI19rocblas_complex_numIfEifPKPS3_EEvPT_lS8_T2_llPT1_ll
                                        ; -- End function
	.set _ZN9rocsolver6v33100L11set_taubetaI19rocblas_complex_numIfEifPKPS3_EEvPT_lS8_T2_llPT1_ll.num_vgpr, 21
	.set _ZN9rocsolver6v33100L11set_taubetaI19rocblas_complex_numIfEifPKPS3_EEvPT_lS8_T2_llPT1_ll.num_agpr, 0
	.set _ZN9rocsolver6v33100L11set_taubetaI19rocblas_complex_numIfEifPKPS3_EEvPT_lS8_T2_llPT1_ll.numbered_sgpr, 24
	.set _ZN9rocsolver6v33100L11set_taubetaI19rocblas_complex_numIfEifPKPS3_EEvPT_lS8_T2_llPT1_ll.num_named_barrier, 0
	.set _ZN9rocsolver6v33100L11set_taubetaI19rocblas_complex_numIfEifPKPS3_EEvPT_lS8_T2_llPT1_ll.private_seg_size, 0
	.set _ZN9rocsolver6v33100L11set_taubetaI19rocblas_complex_numIfEifPKPS3_EEvPT_lS8_T2_llPT1_ll.uses_vcc, 1
	.set _ZN9rocsolver6v33100L11set_taubetaI19rocblas_complex_numIfEifPKPS3_EEvPT_lS8_T2_llPT1_ll.uses_flat_scratch, 0
	.set _ZN9rocsolver6v33100L11set_taubetaI19rocblas_complex_numIfEifPKPS3_EEvPT_lS8_T2_llPT1_ll.has_dyn_sized_stack, 0
	.set _ZN9rocsolver6v33100L11set_taubetaI19rocblas_complex_numIfEifPKPS3_EEvPT_lS8_T2_llPT1_ll.has_recursion, 0
	.set _ZN9rocsolver6v33100L11set_taubetaI19rocblas_complex_numIfEifPKPS3_EEvPT_lS8_T2_llPT1_ll.has_indirect_call, 0
	.section	.AMDGPU.csdata,"",@progbits
; Kernel info:
; codeLenInByte = 984
; TotalNumSgprs: 28
; NumVgprs: 21
; ScratchSize: 0
; MemoryBound: 0
; FloatMode: 240
; IeeeMode: 1
; LDSByteSize: 0 bytes/workgroup (compile time only)
; SGPRBlocks: 3
; VGPRBlocks: 5
; NumSGPRsForWavesPerEU: 28
; NumVGPRsForWavesPerEU: 21
; Occupancy: 10
; WaveLimiterHint : 1
; COMPUTE_PGM_RSRC2:SCRATCH_EN: 0
; COMPUTE_PGM_RSRC2:USER_SGPR: 6
; COMPUTE_PGM_RSRC2:TRAP_HANDLER: 0
; COMPUTE_PGM_RSRC2:TGID_X_EN: 1
; COMPUTE_PGM_RSRC2:TGID_Y_EN: 0
; COMPUTE_PGM_RSRC2:TGID_Z_EN: 0
; COMPUTE_PGM_RSRC2:TIDIG_COMP_CNT: 0
	.section	.text._ZN9rocsolver6v33100L13conj_in_placeI19rocblas_complex_numIfEiPS3_TnNSt9enable_ifIX18rocblas_is_complexIT_EEiE4typeELi0EEEvT0_S9_T1_lS9_l,"axG",@progbits,_ZN9rocsolver6v33100L13conj_in_placeI19rocblas_complex_numIfEiPS3_TnNSt9enable_ifIX18rocblas_is_complexIT_EEiE4typeELi0EEEvT0_S9_T1_lS9_l,comdat
	.globl	_ZN9rocsolver6v33100L13conj_in_placeI19rocblas_complex_numIfEiPS3_TnNSt9enable_ifIX18rocblas_is_complexIT_EEiE4typeELi0EEEvT0_S9_T1_lS9_l ; -- Begin function _ZN9rocsolver6v33100L13conj_in_placeI19rocblas_complex_numIfEiPS3_TnNSt9enable_ifIX18rocblas_is_complexIT_EEiE4typeELi0EEEvT0_S9_T1_lS9_l
	.p2align	8
	.type	_ZN9rocsolver6v33100L13conj_in_placeI19rocblas_complex_numIfEiPS3_TnNSt9enable_ifIX18rocblas_is_complexIT_EEiE4typeELi0EEEvT0_S9_T1_lS9_l,@function
_ZN9rocsolver6v33100L13conj_in_placeI19rocblas_complex_numIfEiPS3_TnNSt9enable_ifIX18rocblas_is_complexIT_EEiE4typeELi0EEEvT0_S9_T1_lS9_l: ; @_ZN9rocsolver6v33100L13conj_in_placeI19rocblas_complex_numIfEiPS3_TnNSt9enable_ifIX18rocblas_is_complexIT_EEiE4typeELi0EEEvT0_S9_T1_lS9_l
; %bb.0:
	s_load_dword s2, s[4:5], 0x34
	s_load_dwordx2 s[0:1], s[4:5], 0x0
	s_waitcnt lgkmcnt(0)
	s_lshr_b32 s3, s2, 16
	s_and_b32 s2, s2, 0xffff
	s_mul_i32 s6, s6, s2
	s_mul_i32 s7, s7, s3
	v_add_u32_e32 v0, s6, v0
	v_add_u32_e32 v1, s7, v1
	v_cmp_gt_i32_e32 vcc, s0, v0
	v_cmp_gt_i32_e64 s[0:1], s1, v1
	s_and_b64 s[0:1], vcc, s[0:1]
	s_and_saveexec_b64 s[2:3], s[0:1]
	s_cbranch_execz .LBB37_2
; %bb.1:
	s_load_dwordx2 s[6:7], s[4:5], 0x20
	s_load_dwordx4 s[0:3], s[4:5], 0x8
	s_load_dword s9, s[4:5], 0x18
	s_ashr_i32 s4, s8, 31
	s_waitcnt lgkmcnt(0)
	s_mul_hi_u32 s5, s6, s8
	s_mul_i32 s4, s6, s4
	s_add_i32 s4, s5, s4
	s_mul_i32 s5, s7, s8
	s_add_i32 s5, s4, s5
	s_mul_i32 s4, s6, s8
	s_lshl_b64 s[4:5], s[4:5], 3
	s_add_u32 s4, s0, s4
	s_addc_u32 s5, s1, s5
	s_lshl_b64 s[0:1], s[2:3], 3
	v_mad_i64_i32 v[2:3], s[2:3], v1, s9, 0
	s_add_u32 s0, s4, s0
	s_addc_u32 s1, s5, s1
	v_lshlrev_b64 v[3:4], 3, v[2:3]
	v_ashrrev_i32_e32 v1, 31, v0
	v_mov_b32_e32 v5, s1
	v_add_co_u32_e32 v6, vcc, s0, v3
	v_addc_co_u32_e32 v5, vcc, v5, v4, vcc
	v_lshlrev_b64 v[3:4], 3, v[0:1]
	v_add_u32_e32 v0, v2, v0
	v_add_co_u32_e32 v3, vcc, v6, v3
	v_addc_co_u32_e32 v4, vcc, v5, v4, vcc
	global_load_dwordx2 v[3:4], v[3:4], off
	v_ashrrev_i32_e32 v1, 31, v0
	v_lshlrev_b64 v[0:1], 3, v[0:1]
	v_mov_b32_e32 v2, s1
	v_add_co_u32_e32 v0, vcc, s0, v0
	v_addc_co_u32_e32 v1, vcc, v2, v1, vcc
	s_waitcnt vmcnt(0)
	v_xor_b32_e32 v4, 0x80000000, v4
	global_store_dwordx2 v[0:1], v[3:4], off
.LBB37_2:
	s_endpgm
	.section	.rodata,"a",@progbits
	.p2align	6, 0x0
	.amdhsa_kernel _ZN9rocsolver6v33100L13conj_in_placeI19rocblas_complex_numIfEiPS3_TnNSt9enable_ifIX18rocblas_is_complexIT_EEiE4typeELi0EEEvT0_S9_T1_lS9_l
		.amdhsa_group_segment_fixed_size 0
		.amdhsa_private_segment_fixed_size 0
		.amdhsa_kernarg_size 296
		.amdhsa_user_sgpr_count 6
		.amdhsa_user_sgpr_private_segment_buffer 1
		.amdhsa_user_sgpr_dispatch_ptr 0
		.amdhsa_user_sgpr_queue_ptr 0
		.amdhsa_user_sgpr_kernarg_segment_ptr 1
		.amdhsa_user_sgpr_dispatch_id 0
		.amdhsa_user_sgpr_flat_scratch_init 0
		.amdhsa_user_sgpr_private_segment_size 0
		.amdhsa_uses_dynamic_stack 0
		.amdhsa_system_sgpr_private_segment_wavefront_offset 0
		.amdhsa_system_sgpr_workgroup_id_x 1
		.amdhsa_system_sgpr_workgroup_id_y 1
		.amdhsa_system_sgpr_workgroup_id_z 1
		.amdhsa_system_sgpr_workgroup_info 0
		.amdhsa_system_vgpr_workitem_id 1
		.amdhsa_next_free_vgpr 7
		.amdhsa_next_free_sgpr 10
		.amdhsa_reserve_vcc 1
		.amdhsa_reserve_flat_scratch 0
		.amdhsa_float_round_mode_32 0
		.amdhsa_float_round_mode_16_64 0
		.amdhsa_float_denorm_mode_32 3
		.amdhsa_float_denorm_mode_16_64 3
		.amdhsa_dx10_clamp 1
		.amdhsa_ieee_mode 1
		.amdhsa_fp16_overflow 0
		.amdhsa_exception_fp_ieee_invalid_op 0
		.amdhsa_exception_fp_denorm_src 0
		.amdhsa_exception_fp_ieee_div_zero 0
		.amdhsa_exception_fp_ieee_overflow 0
		.amdhsa_exception_fp_ieee_underflow 0
		.amdhsa_exception_fp_ieee_inexact 0
		.amdhsa_exception_int_div_zero 0
	.end_amdhsa_kernel
	.section	.text._ZN9rocsolver6v33100L13conj_in_placeI19rocblas_complex_numIfEiPS3_TnNSt9enable_ifIX18rocblas_is_complexIT_EEiE4typeELi0EEEvT0_S9_T1_lS9_l,"axG",@progbits,_ZN9rocsolver6v33100L13conj_in_placeI19rocblas_complex_numIfEiPS3_TnNSt9enable_ifIX18rocblas_is_complexIT_EEiE4typeELi0EEEvT0_S9_T1_lS9_l,comdat
.Lfunc_end37:
	.size	_ZN9rocsolver6v33100L13conj_in_placeI19rocblas_complex_numIfEiPS3_TnNSt9enable_ifIX18rocblas_is_complexIT_EEiE4typeELi0EEEvT0_S9_T1_lS9_l, .Lfunc_end37-_ZN9rocsolver6v33100L13conj_in_placeI19rocblas_complex_numIfEiPS3_TnNSt9enable_ifIX18rocblas_is_complexIT_EEiE4typeELi0EEEvT0_S9_T1_lS9_l
                                        ; -- End function
	.set _ZN9rocsolver6v33100L13conj_in_placeI19rocblas_complex_numIfEiPS3_TnNSt9enable_ifIX18rocblas_is_complexIT_EEiE4typeELi0EEEvT0_S9_T1_lS9_l.num_vgpr, 7
	.set _ZN9rocsolver6v33100L13conj_in_placeI19rocblas_complex_numIfEiPS3_TnNSt9enable_ifIX18rocblas_is_complexIT_EEiE4typeELi0EEEvT0_S9_T1_lS9_l.num_agpr, 0
	.set _ZN9rocsolver6v33100L13conj_in_placeI19rocblas_complex_numIfEiPS3_TnNSt9enable_ifIX18rocblas_is_complexIT_EEiE4typeELi0EEEvT0_S9_T1_lS9_l.numbered_sgpr, 10
	.set _ZN9rocsolver6v33100L13conj_in_placeI19rocblas_complex_numIfEiPS3_TnNSt9enable_ifIX18rocblas_is_complexIT_EEiE4typeELi0EEEvT0_S9_T1_lS9_l.num_named_barrier, 0
	.set _ZN9rocsolver6v33100L13conj_in_placeI19rocblas_complex_numIfEiPS3_TnNSt9enable_ifIX18rocblas_is_complexIT_EEiE4typeELi0EEEvT0_S9_T1_lS9_l.private_seg_size, 0
	.set _ZN9rocsolver6v33100L13conj_in_placeI19rocblas_complex_numIfEiPS3_TnNSt9enable_ifIX18rocblas_is_complexIT_EEiE4typeELi0EEEvT0_S9_T1_lS9_l.uses_vcc, 1
	.set _ZN9rocsolver6v33100L13conj_in_placeI19rocblas_complex_numIfEiPS3_TnNSt9enable_ifIX18rocblas_is_complexIT_EEiE4typeELi0EEEvT0_S9_T1_lS9_l.uses_flat_scratch, 0
	.set _ZN9rocsolver6v33100L13conj_in_placeI19rocblas_complex_numIfEiPS3_TnNSt9enable_ifIX18rocblas_is_complexIT_EEiE4typeELi0EEEvT0_S9_T1_lS9_l.has_dyn_sized_stack, 0
	.set _ZN9rocsolver6v33100L13conj_in_placeI19rocblas_complex_numIfEiPS3_TnNSt9enable_ifIX18rocblas_is_complexIT_EEiE4typeELi0EEEvT0_S9_T1_lS9_l.has_recursion, 0
	.set _ZN9rocsolver6v33100L13conj_in_placeI19rocblas_complex_numIfEiPS3_TnNSt9enable_ifIX18rocblas_is_complexIT_EEiE4typeELi0EEEvT0_S9_T1_lS9_l.has_indirect_call, 0
	.section	.AMDGPU.csdata,"",@progbits
; Kernel info:
; codeLenInByte = 260
; TotalNumSgprs: 14
; NumVgprs: 7
; ScratchSize: 0
; MemoryBound: 0
; FloatMode: 240
; IeeeMode: 1
; LDSByteSize: 0 bytes/workgroup (compile time only)
; SGPRBlocks: 1
; VGPRBlocks: 1
; NumSGPRsForWavesPerEU: 14
; NumVGPRsForWavesPerEU: 7
; Occupancy: 10
; WaveLimiterHint : 0
; COMPUTE_PGM_RSRC2:SCRATCH_EN: 0
; COMPUTE_PGM_RSRC2:USER_SGPR: 6
; COMPUTE_PGM_RSRC2:TRAP_HANDLER: 0
; COMPUTE_PGM_RSRC2:TGID_X_EN: 1
; COMPUTE_PGM_RSRC2:TGID_Y_EN: 1
; COMPUTE_PGM_RSRC2:TGID_Z_EN: 1
; COMPUTE_PGM_RSRC2:TIDIG_COMP_CNT: 1
	.section	.text._ZN9rocsolver6v33100L16larf_left_kernelILi1024E19rocblas_complex_numIfEiPKPS3_EEvT1_S7_T2_lS7_lPKT0_lS8_lS7_l,"axG",@progbits,_ZN9rocsolver6v33100L16larf_left_kernelILi1024E19rocblas_complex_numIfEiPKPS3_EEvT1_S7_T2_lS7_lPKT0_lS8_lS7_l,comdat
	.globl	_ZN9rocsolver6v33100L16larf_left_kernelILi1024E19rocblas_complex_numIfEiPKPS3_EEvT1_S7_T2_lS7_lPKT0_lS8_lS7_l ; -- Begin function _ZN9rocsolver6v33100L16larf_left_kernelILi1024E19rocblas_complex_numIfEiPKPS3_EEvT1_S7_T2_lS7_lPKT0_lS8_lS7_l
	.p2align	8
	.type	_ZN9rocsolver6v33100L16larf_left_kernelILi1024E19rocblas_complex_numIfEiPKPS3_EEvT1_S7_T2_lS7_lPKT0_lS8_lS7_l,@function
_ZN9rocsolver6v33100L16larf_left_kernelILi1024E19rocblas_complex_numIfEiPKPS3_EEvT1_S7_T2_lS7_lPKT0_lS8_lS7_l: ; @_ZN9rocsolver6v33100L16larf_left_kernelILi1024E19rocblas_complex_numIfEiPKPS3_EEvT1_S7_T2_lS7_lPKT0_lS8_lS7_l
; %bb.0:
	s_load_dwordx8 s[12:19], s[4:5], 0x28
	s_load_dword s22, s[4:5], 0x0
	s_load_dword s6, s[4:5], 0x48
	s_ashr_i32 s9, s8, 31
	s_lshl_b64 s[20:21], s[8:9], 3
	s_waitcnt lgkmcnt(0)
	s_add_u32 s0, s16, s20
	s_addc_u32 s1, s17, s21
	s_load_dwordx2 s[2:3], s[0:1], 0x0
	v_cmp_gt_i32_e64 s[0:1], s22, v0
	v_mov_b32_e32 v4, 0
	s_mul_hi_i32 s11, s7, s6
	s_mul_i32 s10, s7, s6
	v_mov_b32_e32 v5, 0
	s_and_saveexec_b64 s[6:7], s[0:1]
	s_cbranch_execz .LBB38_6
; %bb.1:
	s_load_dword s16, s[4:5], 0x18
	s_load_dwordx4 s[24:27], s[4:5], 0x8
	s_sub_i32 s4, 1, s22
	v_lshl_add_u32 v3, v0, 3, 0
	v_add_u32_e32 v3, 0x80, v3
	s_waitcnt lgkmcnt(0)
	s_ashr_i32 s17, s16, 31
	s_mul_i32 s23, s16, s4
	v_cmp_lt_i64_e64 s[4:5], s[16:17], 1
	v_mad_i64_i32 v[1:2], s[28:29], s16, v0, 0
	s_and_b64 s[4:5], s[4:5], exec
	s_cselect_b32 s4, s23, 0
	s_ashr_i32 s5, s4, 31
	s_add_u32 s20, s24, s20
	s_addc_u32 s21, s25, s21
	s_load_dwordx2 s[20:21], s[20:21], 0x0
	s_lshl_b64 s[24:25], s[26:27], 3
	s_lshl_b64 s[4:5], s[4:5], 3
	v_lshlrev_b64 v[1:2], 3, v[1:2]
	v_mov_b32_e32 v5, v3
	s_waitcnt lgkmcnt(0)
	s_add_u32 s4, s20, s4
	s_addc_u32 s5, s21, s5
	s_add_u32 s4, s4, s24
	s_addc_u32 s5, s5, s25
	v_mov_b32_e32 v4, s5
	v_add_co_u32_e32 v1, vcc, s4, v1
	s_lshl_b64 s[16:17], s[16:17], 13
	v_addc_co_u32_e32 v2, vcc, v4, v2, vcc
	s_mov_b64 s[4:5], 0
	v_mov_b32_e32 v4, s17
	v_mov_b32_e32 v6, v0
.LBB38_2:                               ; =>This Inner Loop Header: Depth=1
	flat_load_dwordx2 v[7:8], v[1:2]
	v_add_co_u32_e32 v1, vcc, s16, v1
	v_add_u32_e32 v6, 0x400, v6
	v_addc_co_u32_e32 v2, vcc, v2, v4, vcc
	v_cmp_le_i32_e32 vcc, s22, v6
	s_or_b64 s[4:5], vcc, s[4:5]
	s_waitcnt vmcnt(0) lgkmcnt(0)
	ds_write_b64 v5, v[7:8]
	v_add_u32_e32 v5, 0x2000, v5
	s_andn2_b64 exec, exec, s[4:5]
	s_cbranch_execnz .LBB38_2
; %bb.3:
	s_or_b64 exec, exec, s[4:5]
	s_lshl_b64 s[4:5], s[10:11], 3
	s_lshl_b64 s[16:17], s[18:19], 3
	s_add_u32 s4, s4, s16
	s_addc_u32 s5, s5, s17
	s_add_u32 s4, s2, s4
	v_lshlrev_b32_e32 v1, 3, v0
	s_addc_u32 s5, s3, s5
	v_mov_b32_e32 v2, s5
	v_add_co_u32_e32 v1, vcc, s4, v1
	v_mov_b32_e32 v4, 0
	v_addc_co_u32_e32 v2, vcc, 0, v2, vcc
	s_mov_b64 s[4:5], 0
	v_mov_b32_e32 v6, v0
	v_mov_b32_e32 v5, 0
.LBB38_4:                               ; =>This Inner Loop Header: Depth=1
	flat_load_dwordx2 v[7:8], v[1:2]
	ds_read_b64 v[9:10], v3
	v_add_co_u32_e32 v1, vcc, 0x2000, v1
	v_add_u32_e32 v6, 0x400, v6
	v_addc_co_u32_e32 v2, vcc, 0, v2, vcc
	v_cmp_le_i32_e32 vcc, s22, v6
	v_add_u32_e32 v3, 0x2000, v3
	s_or_b64 s[4:5], vcc, s[4:5]
	s_waitcnt vmcnt(0) lgkmcnt(0)
	v_mul_f32_e32 v11, v8, v10
	v_mul_f32_e32 v8, v8, v9
	v_fmac_f32_e32 v11, v7, v9
	v_fma_f32 v7, v7, v10, -v8
	v_add_f32_e32 v5, v5, v11
	v_add_f32_e32 v4, v4, v7
	s_andn2_b64 exec, exec, s[4:5]
	s_cbranch_execnz .LBB38_4
; %bb.5:
	s_or_b64 exec, exec, s[4:5]
.LBB38_6:
	s_or_b64 exec, exec, s[6:7]
	v_mbcnt_lo_u32_b32 v1, -1, 0
	v_mbcnt_hi_u32_b32 v1, -1, v1
	v_and_b32_e32 v2, 63, v1
	v_cmp_ne_u32_e32 vcc, 63, v2
	v_addc_co_u32_e32 v3, vcc, 0, v1, vcc
	v_lshlrev_b32_e32 v3, 2, v3
	ds_bpermute_b32 v6, v3, v5
	ds_bpermute_b32 v3, v3, v4
	v_cmp_gt_u32_e32 vcc, 62, v2
	s_waitcnt lgkmcnt(0)
	v_add_f32_e32 v5, v5, v6
	v_add_f32_e32 v3, v4, v3
	v_cndmask_b32_e64 v4, 0, 2, vcc
	v_add_lshl_u32 v4, v4, v1, 2
	ds_bpermute_b32 v6, v4, v5
	ds_bpermute_b32 v4, v4, v3
	v_cmp_gt_u32_e32 vcc, 60, v2
	s_waitcnt lgkmcnt(1)
	v_add_f32_e32 v5, v5, v6
	s_waitcnt lgkmcnt(0)
	v_add_f32_e32 v3, v3, v4
	v_cndmask_b32_e64 v4, 0, 4, vcc
	v_add_lshl_u32 v4, v4, v1, 2
	ds_bpermute_b32 v6, v4, v5
	ds_bpermute_b32 v4, v4, v3
	v_cmp_gt_u32_e32 vcc, 56, v2
	s_waitcnt lgkmcnt(1)
	v_add_f32_e32 v5, v5, v6
	s_waitcnt lgkmcnt(0)
	v_add_f32_e32 v3, v3, v4
	v_cndmask_b32_e64 v4, 0, 8, vcc
	v_add_lshl_u32 v4, v4, v1, 2
	ds_bpermute_b32 v6, v4, v5
	ds_bpermute_b32 v4, v4, v3
	v_cmp_gt_u32_e32 vcc, 48, v2
	v_cndmask_b32_e64 v2, 0, 16, vcc
	v_add_lshl_u32 v2, v2, v1, 2
	s_waitcnt lgkmcnt(1)
	v_add_f32_e32 v5, v5, v6
	s_waitcnt lgkmcnt(0)
	v_add_f32_e32 v3, v3, v4
	ds_bpermute_b32 v4, v2, v5
	ds_bpermute_b32 v2, v2, v3
	s_waitcnt lgkmcnt(1)
	v_add_f32_e32 v4, v5, v4
	s_waitcnt lgkmcnt(0)
	v_add_f32_e32 v2, v3, v2
	v_mov_b32_e32 v3, 0x80
	v_lshl_or_b32 v1, v1, 2, v3
	ds_bpermute_b32 v3, v1, v4
	ds_bpermute_b32 v5, v1, v2
	s_waitcnt lgkmcnt(1)
	v_add_f32_e32 v1, v4, v3
	v_and_b32_e32 v3, 63, v0
	s_waitcnt lgkmcnt(0)
	v_add_f32_e32 v2, v2, v5
	v_cmp_eq_u32_e32 vcc, 0, v3
	s_and_saveexec_b64 s[4:5], vcc
; %bb.7:
	v_lshrrev_b32_e32 v3, 3, v0
	v_add_u32_e32 v3, 0, v3
	ds_write2_b32 v3, v1, v2 offset1:1
; %bb.8:
	s_or_b64 exec, exec, s[4:5]
	v_cmp_eq_u32_e32 vcc, 0, v0
	s_waitcnt lgkmcnt(0)
	s_barrier
	s_and_saveexec_b64 s[4:5], vcc
	s_cbranch_execz .LBB38_10
; %bb.9:
	v_mov_b32_e32 v15, 0
	ds_read2_b64 v[3:6], v15 offset0:1 offset1:2
	ds_read2_b64 v[7:10], v15 offset0:3 offset1:4
	;; [unrolled: 1-line block ×3, first 2 shown]
	s_waitcnt lgkmcnt(2)
	v_add_f32_e32 v1, v1, v3
	v_add_f32_e32 v2, v2, v4
	;; [unrolled: 1-line block ×4, first 2 shown]
	s_waitcnt lgkmcnt(1)
	v_add_f32_e32 v1, v1, v7
	v_add_f32_e32 v2, v2, v8
	;; [unrolled: 1-line block ×4, first 2 shown]
	ds_read2_b64 v[1:4], v15 offset0:7 offset1:8
	s_waitcnt lgkmcnt(1)
	v_add_f32_e32 v5, v5, v11
	v_add_f32_e32 v6, v6, v12
	;; [unrolled: 1-line block ×4, first 2 shown]
	s_waitcnt lgkmcnt(0)
	v_add_f32_e32 v1, v5, v1
	ds_read2_b64 v[5:8], v15 offset0:9 offset1:10
	v_add_f32_e32 v2, v9, v2
	v_add_f32_e32 v9, v1, v3
	;; [unrolled: 1-line block ×3, first 2 shown]
	ds_read2_b64 v[1:4], v15 offset0:11 offset1:12
	s_waitcnt lgkmcnt(1)
	v_add_f32_e32 v5, v9, v5
	v_add_f32_e32 v6, v10, v6
	;; [unrolled: 1-line block ×4, first 2 shown]
	s_waitcnt lgkmcnt(0)
	v_add_f32_e32 v1, v5, v1
	ds_read2_b64 v[5:8], v15 offset0:13 offset1:14
	v_add_f32_e32 v2, v9, v2
	v_add_f32_e32 v3, v1, v3
	;; [unrolled: 1-line block ×3, first 2 shown]
	ds_read_b64 v[1:2], v15 offset:120
	s_waitcnt lgkmcnt(1)
	v_add_f32_e32 v3, v3, v5
	v_add_f32_e32 v4, v4, v6
	;; [unrolled: 1-line block ×4, first 2 shown]
	s_waitcnt lgkmcnt(0)
	v_add_f32_e32 v1, v3, v1
	v_add_f32_e32 v2, v4, v2
	ds_write_b64 v15, v[1:2]
.LBB38_10:
	s_or_b64 exec, exec, s[4:5]
	s_waitcnt lgkmcnt(0)
	s_barrier
	s_and_saveexec_b64 s[4:5], s[0:1]
	s_cbranch_execz .LBB38_13
; %bb.11:
	s_mul_i32 s0, s14, s9
	s_mul_hi_u32 s1, s14, s8
	s_add_i32 s0, s1, s0
	s_mul_i32 s1, s15, s8
	s_add_i32 s1, s0, s1
	s_mul_i32 s0, s14, s8
	s_lshl_b64 s[0:1], s[0:1], 3
	s_add_u32 s0, s12, s0
	s_addc_u32 s1, s13, s1
	v_mov_b32_e32 v1, 0
	s_load_dwordx2 s[4:5], s[0:1], 0x0
	ds_read_b64 v[1:2], v1
	s_lshl_b64 s[0:1], s[10:11], 3
	s_waitcnt lgkmcnt(0)
	v_mul_f32_e32 v3, s5, v2
	v_fma_f32 v3, v1, -s4, -v3
	v_mul_f32_e32 v1, s5, v1
	v_fma_f32 v4, s4, v2, -v1
	s_lshl_b64 s[4:5], s[18:19], 3
	s_add_u32 s0, s0, s4
	s_addc_u32 s1, s1, s5
	v_lshlrev_b32_e32 v1, 3, v0
	s_add_u32 s0, s2, s0
	v_add_u32_e32 v2, 0, v1
	s_addc_u32 s1, s3, s1
	v_add_u32_e32 v5, 0x80, v2
	v_mov_b32_e32 v2, s1
	v_add_co_u32_e32 v1, vcc, s0, v1
	v_addc_co_u32_e32 v2, vcc, 0, v2, vcc
	s_mov_b64 s[0:1], 0
.LBB38_12:                              ; =>This Inner Loop Header: Depth=1
	flat_load_dwordx2 v[6:7], v[1:2]
	ds_read_b64 v[8:9], v5
	v_add_u32_e32 v0, 0x400, v0
	v_cmp_le_i32_e32 vcc, s22, v0
	s_or_b64 s[0:1], vcc, s[0:1]
	v_add_u32_e32 v5, 0x2000, v5
	s_waitcnt lgkmcnt(0)
	v_mul_f32_e32 v10, v4, v9
	v_mul_f32_e32 v9, v3, v9
	v_fma_f32 v10, v3, v8, -v10
	v_fmac_f32_e32 v9, v4, v8
	s_waitcnt vmcnt(0)
	v_add_f32_e32 v6, v6, v10
	v_add_f32_e32 v7, v9, v7
	flat_store_dwordx2 v[1:2], v[6:7]
	v_add_co_u32_e32 v1, vcc, 0x2000, v1
	v_addc_co_u32_e32 v2, vcc, 0, v2, vcc
	s_andn2_b64 exec, exec, s[0:1]
	s_cbranch_execnz .LBB38_12
.LBB38_13:
	s_endpgm
	.section	.rodata,"a",@progbits
	.p2align	6, 0x0
	.amdhsa_kernel _ZN9rocsolver6v33100L16larf_left_kernelILi1024E19rocblas_complex_numIfEiPKPS3_EEvT1_S7_T2_lS7_lPKT0_lS8_lS7_l
		.amdhsa_group_segment_fixed_size 0
		.amdhsa_private_segment_fixed_size 0
		.amdhsa_kernarg_size 88
		.amdhsa_user_sgpr_count 6
		.amdhsa_user_sgpr_private_segment_buffer 1
		.amdhsa_user_sgpr_dispatch_ptr 0
		.amdhsa_user_sgpr_queue_ptr 0
		.amdhsa_user_sgpr_kernarg_segment_ptr 1
		.amdhsa_user_sgpr_dispatch_id 0
		.amdhsa_user_sgpr_flat_scratch_init 0
		.amdhsa_user_sgpr_private_segment_size 0
		.amdhsa_uses_dynamic_stack 0
		.amdhsa_system_sgpr_private_segment_wavefront_offset 0
		.amdhsa_system_sgpr_workgroup_id_x 1
		.amdhsa_system_sgpr_workgroup_id_y 1
		.amdhsa_system_sgpr_workgroup_id_z 1
		.amdhsa_system_sgpr_workgroup_info 0
		.amdhsa_system_vgpr_workitem_id 0
		.amdhsa_next_free_vgpr 16
		.amdhsa_next_free_sgpr 30
		.amdhsa_reserve_vcc 1
		.amdhsa_reserve_flat_scratch 0
		.amdhsa_float_round_mode_32 0
		.amdhsa_float_round_mode_16_64 0
		.amdhsa_float_denorm_mode_32 3
		.amdhsa_float_denorm_mode_16_64 3
		.amdhsa_dx10_clamp 1
		.amdhsa_ieee_mode 1
		.amdhsa_fp16_overflow 0
		.amdhsa_exception_fp_ieee_invalid_op 0
		.amdhsa_exception_fp_denorm_src 0
		.amdhsa_exception_fp_ieee_div_zero 0
		.amdhsa_exception_fp_ieee_overflow 0
		.amdhsa_exception_fp_ieee_underflow 0
		.amdhsa_exception_fp_ieee_inexact 0
		.amdhsa_exception_int_div_zero 0
	.end_amdhsa_kernel
	.section	.text._ZN9rocsolver6v33100L16larf_left_kernelILi1024E19rocblas_complex_numIfEiPKPS3_EEvT1_S7_T2_lS7_lPKT0_lS8_lS7_l,"axG",@progbits,_ZN9rocsolver6v33100L16larf_left_kernelILi1024E19rocblas_complex_numIfEiPKPS3_EEvT1_S7_T2_lS7_lPKT0_lS8_lS7_l,comdat
.Lfunc_end38:
	.size	_ZN9rocsolver6v33100L16larf_left_kernelILi1024E19rocblas_complex_numIfEiPKPS3_EEvT1_S7_T2_lS7_lPKT0_lS8_lS7_l, .Lfunc_end38-_ZN9rocsolver6v33100L16larf_left_kernelILi1024E19rocblas_complex_numIfEiPKPS3_EEvT1_S7_T2_lS7_lPKT0_lS8_lS7_l
                                        ; -- End function
	.set _ZN9rocsolver6v33100L16larf_left_kernelILi1024E19rocblas_complex_numIfEiPKPS3_EEvT1_S7_T2_lS7_lPKT0_lS8_lS7_l.num_vgpr, 16
	.set _ZN9rocsolver6v33100L16larf_left_kernelILi1024E19rocblas_complex_numIfEiPKPS3_EEvT1_S7_T2_lS7_lPKT0_lS8_lS7_l.num_agpr, 0
	.set _ZN9rocsolver6v33100L16larf_left_kernelILi1024E19rocblas_complex_numIfEiPKPS3_EEvT1_S7_T2_lS7_lPKT0_lS8_lS7_l.numbered_sgpr, 30
	.set _ZN9rocsolver6v33100L16larf_left_kernelILi1024E19rocblas_complex_numIfEiPKPS3_EEvT1_S7_T2_lS7_lPKT0_lS8_lS7_l.num_named_barrier, 0
	.set _ZN9rocsolver6v33100L16larf_left_kernelILi1024E19rocblas_complex_numIfEiPKPS3_EEvT1_S7_T2_lS7_lPKT0_lS8_lS7_l.private_seg_size, 0
	.set _ZN9rocsolver6v33100L16larf_left_kernelILi1024E19rocblas_complex_numIfEiPKPS3_EEvT1_S7_T2_lS7_lPKT0_lS8_lS7_l.uses_vcc, 1
	.set _ZN9rocsolver6v33100L16larf_left_kernelILi1024E19rocblas_complex_numIfEiPKPS3_EEvT1_S7_T2_lS7_lPKT0_lS8_lS7_l.uses_flat_scratch, 0
	.set _ZN9rocsolver6v33100L16larf_left_kernelILi1024E19rocblas_complex_numIfEiPKPS3_EEvT1_S7_T2_lS7_lPKT0_lS8_lS7_l.has_dyn_sized_stack, 0
	.set _ZN9rocsolver6v33100L16larf_left_kernelILi1024E19rocblas_complex_numIfEiPKPS3_EEvT1_S7_T2_lS7_lPKT0_lS8_lS7_l.has_recursion, 0
	.set _ZN9rocsolver6v33100L16larf_left_kernelILi1024E19rocblas_complex_numIfEiPKPS3_EEvT1_S7_T2_lS7_lPKT0_lS8_lS7_l.has_indirect_call, 0
	.section	.AMDGPU.csdata,"",@progbits
; Kernel info:
; codeLenInByte = 1328
; TotalNumSgprs: 34
; NumVgprs: 16
; ScratchSize: 0
; MemoryBound: 0
; FloatMode: 240
; IeeeMode: 1
; LDSByteSize: 0 bytes/workgroup (compile time only)
; SGPRBlocks: 4
; VGPRBlocks: 3
; NumSGPRsForWavesPerEU: 34
; NumVGPRsForWavesPerEU: 16
; Occupancy: 10
; WaveLimiterHint : 0
; COMPUTE_PGM_RSRC2:SCRATCH_EN: 0
; COMPUTE_PGM_RSRC2:USER_SGPR: 6
; COMPUTE_PGM_RSRC2:TRAP_HANDLER: 0
; COMPUTE_PGM_RSRC2:TGID_X_EN: 1
; COMPUTE_PGM_RSRC2:TGID_Y_EN: 1
; COMPUTE_PGM_RSRC2:TGID_Z_EN: 1
; COMPUTE_PGM_RSRC2:TIDIG_COMP_CNT: 0
	.section	.text._ZN9rocsolver6v33100L17larf_right_kernelILi1024E19rocblas_complex_numIfEiPKPS3_EEvT1_S7_T2_lS7_lPKT0_lS8_lS7_l,"axG",@progbits,_ZN9rocsolver6v33100L17larf_right_kernelILi1024E19rocblas_complex_numIfEiPKPS3_EEvT1_S7_T2_lS7_lPKT0_lS8_lS7_l,comdat
	.globl	_ZN9rocsolver6v33100L17larf_right_kernelILi1024E19rocblas_complex_numIfEiPKPS3_EEvT1_S7_T2_lS7_lPKT0_lS8_lS7_l ; -- Begin function _ZN9rocsolver6v33100L17larf_right_kernelILi1024E19rocblas_complex_numIfEiPKPS3_EEvT1_S7_T2_lS7_lPKT0_lS8_lS7_l
	.p2align	8
	.type	_ZN9rocsolver6v33100L17larf_right_kernelILi1024E19rocblas_complex_numIfEiPKPS3_EEvT1_S7_T2_lS7_lPKT0_lS8_lS7_l,@function
_ZN9rocsolver6v33100L17larf_right_kernelILi1024E19rocblas_complex_numIfEiPKPS3_EEvT1_S7_T2_lS7_lPKT0_lS8_lS7_l: ; @_ZN9rocsolver6v33100L17larf_right_kernelILi1024E19rocblas_complex_numIfEiPKPS3_EEvT1_S7_T2_lS7_lPKT0_lS8_lS7_l
; %bb.0:
	s_load_dwordx8 s[12:19], s[4:5], 0x28
	s_load_dword s22, s[4:5], 0x4
	s_load_dword s2, s[4:5], 0x48
	s_ashr_i32 s9, s8, 31
	s_lshl_b64 s[0:1], s[8:9], 3
	s_waitcnt lgkmcnt(0)
	s_add_u32 s10, s16, s0
	s_addc_u32 s11, s17, s1
	s_load_dwordx2 s[10:11], s[10:11], 0x0
	s_mov_b32 s6, s7
	s_ashr_i32 s7, s7, 31
	v_cmp_gt_i32_e32 vcc, s22, v0
	v_mov_b32_e32 v5, 0
	v_lshl_add_u32 v3, v0, 3, 0
	v_mov_b32_e32 v6, 0
	s_and_saveexec_b64 s[16:17], vcc
	s_cbranch_execz .LBB39_6
; %bb.1:
	s_load_dword s20, s[4:5], 0x18
	s_load_dwordx4 s[24:27], s[4:5], 0x8
	s_sub_i32 s3, 1, s22
	v_add_u32_e32 v4, 0x80, v3
	v_mov_b32_e32 v6, v4
	s_waitcnt lgkmcnt(0)
	s_ashr_i32 s21, s20, 31
	v_cmp_lt_i64_e64 s[4:5], s[20:21], 1
	s_mul_i32 s3, s20, s3
	s_and_b64 s[4:5], s[4:5], exec
	s_cselect_b32 s4, s3, 0
	s_ashr_i32 s5, s4, 31
	s_add_u32 s0, s24, s0
	s_addc_u32 s1, s25, s1
	s_load_dwordx2 s[0:1], s[0:1], 0x0
	v_mad_i64_i32 v[1:2], s[28:29], s20, v0, 0
	s_lshl_b64 s[24:25], s[26:27], 3
	s_lshl_b64 s[4:5], s[4:5], 3
	s_waitcnt lgkmcnt(0)
	s_add_u32 s0, s0, s4
	s_addc_u32 s1, s1, s5
	v_lshlrev_b64 v[1:2], 3, v[1:2]
	s_add_u32 s0, s0, s24
	s_addc_u32 s1, s1, s25
	v_mov_b32_e32 v5, s1
	v_add_co_u32_e64 v1, s[0:1], s0, v1
	s_lshl_b64 s[20:21], s[20:21], 13
	v_addc_co_u32_e64 v2, s[0:1], v5, v2, s[0:1]
	s_mov_b64 s[4:5], 0
	v_mov_b32_e32 v5, s21
	v_mov_b32_e32 v7, v0
.LBB39_2:                               ; =>This Inner Loop Header: Depth=1
	flat_load_dwordx2 v[8:9], v[1:2]
	v_add_co_u32_e64 v1, s[0:1], s20, v1
	v_add_u32_e32 v7, 0x400, v7
	v_addc_co_u32_e64 v2, s[0:1], v2, v5, s[0:1]
	v_cmp_le_i32_e64 s[0:1], s22, v7
	s_or_b64 s[4:5], s[0:1], s[4:5]
	s_waitcnt vmcnt(0) lgkmcnt(0)
	ds_write_b64 v6, v[8:9]
	v_add_u32_e32 v6, 0x2000, v6
	s_andn2_b64 exec, exec, s[4:5]
	s_cbranch_execnz .LBB39_2
; %bb.3:
	s_or_b64 exec, exec, s[4:5]
	v_mad_i64_i32 v[1:2], s[0:1], s2, v0, 0
	s_ashr_i32 s3, s2, 31
	s_lshl_b64 s[0:1], s[18:19], 3
	s_lshl_b64 s[4:5], s[6:7], 3
	s_add_u32 s4, s10, s4
	s_addc_u32 s5, s11, s5
	v_lshlrev_b64 v[1:2], 3, v[1:2]
	s_add_u32 s0, s4, s0
	s_addc_u32 s1, s5, s1
	v_mov_b32_e32 v5, s1
	v_add_co_u32_e64 v1, s[0:1], s0, v1
	s_lshl_b64 s[4:5], s[2:3], 13
	v_addc_co_u32_e64 v2, s[0:1], v5, v2, s[0:1]
	v_mov_b32_e32 v5, 0
	s_mov_b64 s[20:21], 0
	v_mov_b32_e32 v7, s5
	v_mov_b32_e32 v8, v0
	;; [unrolled: 1-line block ×3, first 2 shown]
.LBB39_4:                               ; =>This Inner Loop Header: Depth=1
	flat_load_dwordx2 v[9:10], v[1:2]
	ds_read_b64 v[11:12], v4
	v_add_co_u32_e64 v1, s[0:1], s4, v1
	v_add_u32_e32 v8, 0x400, v8
	v_addc_co_u32_e64 v2, s[0:1], v2, v7, s[0:1]
	v_cmp_le_i32_e64 s[0:1], s22, v8
	v_add_u32_e32 v4, 0x2000, v4
	s_or_b64 s[20:21], s[0:1], s[20:21]
	s_waitcnt vmcnt(0) lgkmcnt(0)
	v_mul_f32_e32 v13, v12, v10
	v_mul_f32_e32 v10, v11, v10
	v_fma_f32 v11, v11, v9, -v13
	v_fmac_f32_e32 v10, v12, v9
	v_add_f32_e32 v6, v6, v11
	v_add_f32_e32 v5, v5, v10
	s_andn2_b64 exec, exec, s[20:21]
	s_cbranch_execnz .LBB39_4
; %bb.5:
	s_or_b64 exec, exec, s[20:21]
.LBB39_6:
	s_or_b64 exec, exec, s[16:17]
	v_mbcnt_lo_u32_b32 v1, -1, 0
	v_mbcnt_hi_u32_b32 v1, -1, v1
	v_and_b32_e32 v2, 63, v1
	v_cmp_ne_u32_e64 s[0:1], 63, v2
	v_addc_co_u32_e64 v4, s[0:1], 0, v1, s[0:1]
	v_lshlrev_b32_e32 v4, 2, v4
	ds_bpermute_b32 v7, v4, v6
	ds_bpermute_b32 v4, v4, v5
	v_cmp_gt_u32_e64 s[0:1], 62, v2
	s_waitcnt lgkmcnt(0)
	v_add_f32_e32 v6, v6, v7
	v_add_f32_e32 v4, v5, v4
	v_cndmask_b32_e64 v5, 0, 2, s[0:1]
	v_add_lshl_u32 v5, v5, v1, 2
	ds_bpermute_b32 v7, v5, v6
	ds_bpermute_b32 v5, v5, v4
	v_cmp_gt_u32_e64 s[0:1], 60, v2
	s_waitcnt lgkmcnt(1)
	v_add_f32_e32 v6, v6, v7
	s_waitcnt lgkmcnt(0)
	v_add_f32_e32 v4, v4, v5
	v_cndmask_b32_e64 v5, 0, 4, s[0:1]
	v_add_lshl_u32 v5, v5, v1, 2
	ds_bpermute_b32 v7, v5, v6
	ds_bpermute_b32 v5, v5, v4
	v_cmp_gt_u32_e64 s[0:1], 56, v2
	s_waitcnt lgkmcnt(1)
	v_add_f32_e32 v6, v6, v7
	s_waitcnt lgkmcnt(0)
	v_add_f32_e32 v4, v4, v5
	v_cndmask_b32_e64 v5, 0, 8, s[0:1]
	v_add_lshl_u32 v5, v5, v1, 2
	ds_bpermute_b32 v7, v5, v6
	ds_bpermute_b32 v5, v5, v4
	v_cmp_gt_u32_e64 s[0:1], 48, v2
	v_cndmask_b32_e64 v2, 0, 16, s[0:1]
	v_add_lshl_u32 v2, v2, v1, 2
	s_waitcnt lgkmcnt(1)
	v_add_f32_e32 v6, v6, v7
	s_waitcnt lgkmcnt(0)
	v_add_f32_e32 v4, v4, v5
	ds_bpermute_b32 v5, v2, v6
	ds_bpermute_b32 v2, v2, v4
	s_waitcnt lgkmcnt(1)
	v_add_f32_e32 v5, v6, v5
	s_waitcnt lgkmcnt(0)
	v_add_f32_e32 v2, v4, v2
	v_mov_b32_e32 v4, 0x80
	v_lshl_or_b32 v1, v1, 2, v4
	ds_bpermute_b32 v4, v1, v5
	ds_bpermute_b32 v6, v1, v2
	s_waitcnt lgkmcnt(1)
	v_add_f32_e32 v1, v5, v4
	v_and_b32_e32 v4, 63, v0
	s_waitcnt lgkmcnt(0)
	v_add_f32_e32 v2, v2, v6
	v_cmp_eq_u32_e64 s[0:1], 0, v4
	s_and_saveexec_b64 s[4:5], s[0:1]
; %bb.7:
	v_lshrrev_b32_e32 v4, 3, v0
	v_add_u32_e32 v4, 0, v4
	ds_write2_b32 v4, v1, v2 offset1:1
; %bb.8:
	s_or_b64 exec, exec, s[4:5]
	v_cmp_eq_u32_e64 s[0:1], 0, v0
	s_waitcnt lgkmcnt(0)
	s_barrier
	s_and_saveexec_b64 s[4:5], s[0:1]
	s_cbranch_execz .LBB39_10
; %bb.9:
	v_mov_b32_e32 v16, 0
	ds_read2_b64 v[4:7], v16 offset0:1 offset1:2
	ds_read2_b64 v[8:11], v16 offset0:3 offset1:4
	;; [unrolled: 1-line block ×3, first 2 shown]
	s_waitcnt lgkmcnt(2)
	v_add_f32_e32 v1, v1, v4
	v_add_f32_e32 v2, v2, v5
	;; [unrolled: 1-line block ×4, first 2 shown]
	ds_read2_b64 v[4:7], v16 offset0:7 offset1:8
	s_waitcnt lgkmcnt(2)
	v_add_f32_e32 v1, v1, v8
	v_add_f32_e32 v2, v2, v9
	v_add_f32_e32 v1, v1, v10
	v_add_f32_e32 v2, v2, v11
	s_waitcnt lgkmcnt(1)
	v_add_f32_e32 v1, v1, v12
	v_add_f32_e32 v2, v2, v13
	v_add_f32_e32 v1, v1, v14
	v_add_f32_e32 v2, v2, v15
	ds_read2_b64 v[8:11], v16 offset0:9 offset1:10
	s_waitcnt lgkmcnt(1)
	v_add_f32_e32 v1, v1, v4
	v_add_f32_e32 v2, v2, v5
	v_add_f32_e32 v1, v1, v6
	v_add_f32_e32 v2, v2, v7
	ds_read2_b64 v[4:7], v16 offset0:11 offset1:12
	;; [unrolled: 6-line block ×3, first 2 shown]
	s_waitcnt lgkmcnt(1)
	v_add_f32_e32 v1, v1, v4
	v_add_f32_e32 v2, v2, v5
	;; [unrolled: 1-line block ×4, first 2 shown]
	ds_read_b64 v[1:2], v16 offset:120
	s_waitcnt lgkmcnt(1)
	v_add_f32_e32 v4, v4, v8
	v_add_f32_e32 v5, v5, v9
	;; [unrolled: 1-line block ×4, first 2 shown]
	s_waitcnt lgkmcnt(0)
	v_add_f32_e32 v1, v4, v1
	v_add_f32_e32 v2, v5, v2
	ds_write_b64 v16, v[1:2]
.LBB39_10:
	s_or_b64 exec, exec, s[4:5]
	s_waitcnt lgkmcnt(0)
	s_barrier
	s_and_saveexec_b64 s[0:1], vcc
	s_cbranch_execz .LBB39_13
; %bb.11:
	s_mul_i32 s0, s14, s9
	s_mul_hi_u32 s1, s14, s8
	s_add_i32 s0, s1, s0
	s_mul_i32 s1, s15, s8
	s_add_i32 s1, s0, s1
	s_mul_i32 s0, s14, s8
	s_lshl_b64 s[0:1], s[0:1], 3
	s_add_u32 s0, s12, s0
	s_addc_u32 s1, s13, s1
	v_mov_b32_e32 v1, 0
	s_load_dwordx2 s[4:5], s[0:1], 0x0
	ds_read_b64 v[1:2], v1
	v_mad_i64_i32 v[6:7], s[0:1], s2, v0, 0
	s_ashr_i32 s3, s2, 31
	s_lshl_b64 s[0:1], s[18:19], 3
	s_waitcnt lgkmcnt(0)
	v_mul_f32_e32 v4, s4, v1
	v_fma_f32 v4, s5, v2, -v4
	v_mul_f32_e32 v2, s4, v2
	v_fma_f32 v5, v1, -s5, -v2
	s_lshl_b64 s[4:5], s[6:7], 3
	s_add_u32 s4, s10, s4
	s_addc_u32 s5, s11, s5
	v_lshlrev_b64 v[1:2], 3, v[6:7]
	s_add_u32 s0, s4, s0
	s_addc_u32 s1, s5, s1
	v_mov_b32_e32 v6, s1
	v_add_co_u32_e32 v1, vcc, s0, v1
	s_lshl_b64 s[0:1], s[2:3], 13
	v_add_u32_e32 v3, 0x80, v3
	v_addc_co_u32_e32 v2, vcc, v6, v2, vcc
	s_mov_b64 s[2:3], 0
	v_mov_b32_e32 v6, s1
.LBB39_12:                              ; =>This Inner Loop Header: Depth=1
	flat_load_dwordx2 v[7:8], v[1:2]
	ds_read_b64 v[9:10], v3
	v_add_u32_e32 v0, 0x400, v0
	v_cmp_le_i32_e32 vcc, s22, v0
	s_or_b64 s[2:3], vcc, s[2:3]
	v_add_u32_e32 v3, 0x2000, v3
	s_waitcnt lgkmcnt(0)
	v_mul_f32_e32 v11, v5, v10
	v_mul_f32_e32 v10, v4, v10
	v_fmac_f32_e32 v11, v4, v9
	v_fma_f32 v9, v5, v9, -v10
	s_waitcnt vmcnt(0)
	v_add_f32_e32 v7, v7, v11
	v_add_f32_e32 v8, v9, v8
	flat_store_dwordx2 v[1:2], v[7:8]
	v_add_co_u32_e32 v1, vcc, s0, v1
	v_addc_co_u32_e32 v2, vcc, v2, v6, vcc
	s_andn2_b64 exec, exec, s[2:3]
	s_cbranch_execnz .LBB39_12
.LBB39_13:
	s_endpgm
	.section	.rodata,"a",@progbits
	.p2align	6, 0x0
	.amdhsa_kernel _ZN9rocsolver6v33100L17larf_right_kernelILi1024E19rocblas_complex_numIfEiPKPS3_EEvT1_S7_T2_lS7_lPKT0_lS8_lS7_l
		.amdhsa_group_segment_fixed_size 0
		.amdhsa_private_segment_fixed_size 0
		.amdhsa_kernarg_size 88
		.amdhsa_user_sgpr_count 6
		.amdhsa_user_sgpr_private_segment_buffer 1
		.amdhsa_user_sgpr_dispatch_ptr 0
		.amdhsa_user_sgpr_queue_ptr 0
		.amdhsa_user_sgpr_kernarg_segment_ptr 1
		.amdhsa_user_sgpr_dispatch_id 0
		.amdhsa_user_sgpr_flat_scratch_init 0
		.amdhsa_user_sgpr_private_segment_size 0
		.amdhsa_uses_dynamic_stack 0
		.amdhsa_system_sgpr_private_segment_wavefront_offset 0
		.amdhsa_system_sgpr_workgroup_id_x 1
		.amdhsa_system_sgpr_workgroup_id_y 1
		.amdhsa_system_sgpr_workgroup_id_z 1
		.amdhsa_system_sgpr_workgroup_info 0
		.amdhsa_system_vgpr_workitem_id 0
		.amdhsa_next_free_vgpr 17
		.amdhsa_next_free_sgpr 30
		.amdhsa_reserve_vcc 1
		.amdhsa_reserve_flat_scratch 0
		.amdhsa_float_round_mode_32 0
		.amdhsa_float_round_mode_16_64 0
		.amdhsa_float_denorm_mode_32 3
		.amdhsa_float_denorm_mode_16_64 3
		.amdhsa_dx10_clamp 1
		.amdhsa_ieee_mode 1
		.amdhsa_fp16_overflow 0
		.amdhsa_exception_fp_ieee_invalid_op 0
		.amdhsa_exception_fp_denorm_src 0
		.amdhsa_exception_fp_ieee_div_zero 0
		.amdhsa_exception_fp_ieee_overflow 0
		.amdhsa_exception_fp_ieee_underflow 0
		.amdhsa_exception_fp_ieee_inexact 0
		.amdhsa_exception_int_div_zero 0
	.end_amdhsa_kernel
	.section	.text._ZN9rocsolver6v33100L17larf_right_kernelILi1024E19rocblas_complex_numIfEiPKPS3_EEvT1_S7_T2_lS7_lPKT0_lS8_lS7_l,"axG",@progbits,_ZN9rocsolver6v33100L17larf_right_kernelILi1024E19rocblas_complex_numIfEiPKPS3_EEvT1_S7_T2_lS7_lPKT0_lS8_lS7_l,comdat
.Lfunc_end39:
	.size	_ZN9rocsolver6v33100L17larf_right_kernelILi1024E19rocblas_complex_numIfEiPKPS3_EEvT1_S7_T2_lS7_lPKT0_lS8_lS7_l, .Lfunc_end39-_ZN9rocsolver6v33100L17larf_right_kernelILi1024E19rocblas_complex_numIfEiPKPS3_EEvT1_S7_T2_lS7_lPKT0_lS8_lS7_l
                                        ; -- End function
	.set _ZN9rocsolver6v33100L17larf_right_kernelILi1024E19rocblas_complex_numIfEiPKPS3_EEvT1_S7_T2_lS7_lPKT0_lS8_lS7_l.num_vgpr, 17
	.set _ZN9rocsolver6v33100L17larf_right_kernelILi1024E19rocblas_complex_numIfEiPKPS3_EEvT1_S7_T2_lS7_lPKT0_lS8_lS7_l.num_agpr, 0
	.set _ZN9rocsolver6v33100L17larf_right_kernelILi1024E19rocblas_complex_numIfEiPKPS3_EEvT1_S7_T2_lS7_lPKT0_lS8_lS7_l.numbered_sgpr, 30
	.set _ZN9rocsolver6v33100L17larf_right_kernelILi1024E19rocblas_complex_numIfEiPKPS3_EEvT1_S7_T2_lS7_lPKT0_lS8_lS7_l.num_named_barrier, 0
	.set _ZN9rocsolver6v33100L17larf_right_kernelILi1024E19rocblas_complex_numIfEiPKPS3_EEvT1_S7_T2_lS7_lPKT0_lS8_lS7_l.private_seg_size, 0
	.set _ZN9rocsolver6v33100L17larf_right_kernelILi1024E19rocblas_complex_numIfEiPKPS3_EEvT1_S7_T2_lS7_lPKT0_lS8_lS7_l.uses_vcc, 1
	.set _ZN9rocsolver6v33100L17larf_right_kernelILi1024E19rocblas_complex_numIfEiPKPS3_EEvT1_S7_T2_lS7_lPKT0_lS8_lS7_l.uses_flat_scratch, 0
	.set _ZN9rocsolver6v33100L17larf_right_kernelILi1024E19rocblas_complex_numIfEiPKPS3_EEvT1_S7_T2_lS7_lPKT0_lS8_lS7_l.has_dyn_sized_stack, 0
	.set _ZN9rocsolver6v33100L17larf_right_kernelILi1024E19rocblas_complex_numIfEiPKPS3_EEvT1_S7_T2_lS7_lPKT0_lS8_lS7_l.has_recursion, 0
	.set _ZN9rocsolver6v33100L17larf_right_kernelILi1024E19rocblas_complex_numIfEiPKPS3_EEvT1_S7_T2_lS7_lPKT0_lS8_lS7_l.has_indirect_call, 0
	.section	.AMDGPU.csdata,"",@progbits
; Kernel info:
; codeLenInByte = 1432
; TotalNumSgprs: 34
; NumVgprs: 17
; ScratchSize: 0
; MemoryBound: 0
; FloatMode: 240
; IeeeMode: 1
; LDSByteSize: 0 bytes/workgroup (compile time only)
; SGPRBlocks: 4
; VGPRBlocks: 4
; NumSGPRsForWavesPerEU: 34
; NumVGPRsForWavesPerEU: 17
; Occupancy: 10
; WaveLimiterHint : 0
; COMPUTE_PGM_RSRC2:SCRATCH_EN: 0
; COMPUTE_PGM_RSRC2:USER_SGPR: 6
; COMPUTE_PGM_RSRC2:TRAP_HANDLER: 0
; COMPUTE_PGM_RSRC2:TGID_X_EN: 1
; COMPUTE_PGM_RSRC2:TGID_Y_EN: 1
; COMPUTE_PGM_RSRC2:TGID_Z_EN: 1
; COMPUTE_PGM_RSRC2:TIDIG_COMP_CNT: 0
	.section	.text._ZN9rocsolver6v33100L9get_arrayI19rocblas_complex_numIfEiEEvPPT_S5_lT0_,"axG",@progbits,_ZN9rocsolver6v33100L9get_arrayI19rocblas_complex_numIfEiEEvPPT_S5_lT0_,comdat
	.globl	_ZN9rocsolver6v33100L9get_arrayI19rocblas_complex_numIfEiEEvPPT_S5_lT0_ ; -- Begin function _ZN9rocsolver6v33100L9get_arrayI19rocblas_complex_numIfEiEEvPPT_S5_lT0_
	.p2align	8
	.type	_ZN9rocsolver6v33100L9get_arrayI19rocblas_complex_numIfEiEEvPPT_S5_lT0_,@function
_ZN9rocsolver6v33100L9get_arrayI19rocblas_complex_numIfEiEEvPPT_S5_lT0_: ; @_ZN9rocsolver6v33100L9get_arrayI19rocblas_complex_numIfEiEEvPPT_S5_lT0_
; %bb.0:
	s_load_dword s0, s[4:5], 0x2c
	s_load_dword s1, s[4:5], 0x18
	s_waitcnt lgkmcnt(0)
	s_and_b32 s0, s0, 0xffff
	s_mul_i32 s6, s6, s0
	v_add_u32_e32 v0, s6, v0
	v_cmp_gt_i32_e32 vcc, s1, v0
	s_and_saveexec_b64 s[0:1], vcc
	s_cbranch_execz .LBB40_2
; %bb.1:
	s_load_dwordx2 s[6:7], s[4:5], 0x10
	s_load_dwordx4 s[0:3], s[4:5], 0x0
	v_ashrrev_i32_e32 v1, 31, v0
	s_waitcnt lgkmcnt(0)
	v_mul_lo_u32 v4, s7, v0
	v_mul_lo_u32 v5, s6, v1
	v_mad_u64_u32 v[2:3], s[4:5], s6, v0, 0
	v_mov_b32_e32 v6, s3
	v_lshlrev_b64 v[0:1], 3, v[0:1]
	v_add3_u32 v3, v3, v5, v4
	v_lshlrev_b64 v[2:3], 3, v[2:3]
	v_mov_b32_e32 v4, s1
	v_add_co_u32_e32 v2, vcc, s2, v2
	v_addc_co_u32_e32 v3, vcc, v6, v3, vcc
	v_add_co_u32_e32 v0, vcc, s0, v0
	v_addc_co_u32_e32 v1, vcc, v4, v1, vcc
	global_store_dwordx2 v[0:1], v[2:3], off
.LBB40_2:
	s_endpgm
	.section	.rodata,"a",@progbits
	.p2align	6, 0x0
	.amdhsa_kernel _ZN9rocsolver6v33100L9get_arrayI19rocblas_complex_numIfEiEEvPPT_S5_lT0_
		.amdhsa_group_segment_fixed_size 0
		.amdhsa_private_segment_fixed_size 0
		.amdhsa_kernarg_size 288
		.amdhsa_user_sgpr_count 6
		.amdhsa_user_sgpr_private_segment_buffer 1
		.amdhsa_user_sgpr_dispatch_ptr 0
		.amdhsa_user_sgpr_queue_ptr 0
		.amdhsa_user_sgpr_kernarg_segment_ptr 1
		.amdhsa_user_sgpr_dispatch_id 0
		.amdhsa_user_sgpr_flat_scratch_init 0
		.amdhsa_user_sgpr_private_segment_size 0
		.amdhsa_uses_dynamic_stack 0
		.amdhsa_system_sgpr_private_segment_wavefront_offset 0
		.amdhsa_system_sgpr_workgroup_id_x 1
		.amdhsa_system_sgpr_workgroup_id_y 0
		.amdhsa_system_sgpr_workgroup_id_z 0
		.amdhsa_system_sgpr_workgroup_info 0
		.amdhsa_system_vgpr_workitem_id 0
		.amdhsa_next_free_vgpr 7
		.amdhsa_next_free_sgpr 8
		.amdhsa_reserve_vcc 1
		.amdhsa_reserve_flat_scratch 0
		.amdhsa_float_round_mode_32 0
		.amdhsa_float_round_mode_16_64 0
		.amdhsa_float_denorm_mode_32 3
		.amdhsa_float_denorm_mode_16_64 3
		.amdhsa_dx10_clamp 1
		.amdhsa_ieee_mode 1
		.amdhsa_fp16_overflow 0
		.amdhsa_exception_fp_ieee_invalid_op 0
		.amdhsa_exception_fp_denorm_src 0
		.amdhsa_exception_fp_ieee_div_zero 0
		.amdhsa_exception_fp_ieee_overflow 0
		.amdhsa_exception_fp_ieee_underflow 0
		.amdhsa_exception_fp_ieee_inexact 0
		.amdhsa_exception_int_div_zero 0
	.end_amdhsa_kernel
	.section	.text._ZN9rocsolver6v33100L9get_arrayI19rocblas_complex_numIfEiEEvPPT_S5_lT0_,"axG",@progbits,_ZN9rocsolver6v33100L9get_arrayI19rocblas_complex_numIfEiEEvPPT_S5_lT0_,comdat
.Lfunc_end40:
	.size	_ZN9rocsolver6v33100L9get_arrayI19rocblas_complex_numIfEiEEvPPT_S5_lT0_, .Lfunc_end40-_ZN9rocsolver6v33100L9get_arrayI19rocblas_complex_numIfEiEEvPPT_S5_lT0_
                                        ; -- End function
	.set _ZN9rocsolver6v33100L9get_arrayI19rocblas_complex_numIfEiEEvPPT_S5_lT0_.num_vgpr, 7
	.set _ZN9rocsolver6v33100L9get_arrayI19rocblas_complex_numIfEiEEvPPT_S5_lT0_.num_agpr, 0
	.set _ZN9rocsolver6v33100L9get_arrayI19rocblas_complex_numIfEiEEvPPT_S5_lT0_.numbered_sgpr, 8
	.set _ZN9rocsolver6v33100L9get_arrayI19rocblas_complex_numIfEiEEvPPT_S5_lT0_.num_named_barrier, 0
	.set _ZN9rocsolver6v33100L9get_arrayI19rocblas_complex_numIfEiEEvPPT_S5_lT0_.private_seg_size, 0
	.set _ZN9rocsolver6v33100L9get_arrayI19rocblas_complex_numIfEiEEvPPT_S5_lT0_.uses_vcc, 1
	.set _ZN9rocsolver6v33100L9get_arrayI19rocblas_complex_numIfEiEEvPPT_S5_lT0_.uses_flat_scratch, 0
	.set _ZN9rocsolver6v33100L9get_arrayI19rocblas_complex_numIfEiEEvPPT_S5_lT0_.has_dyn_sized_stack, 0
	.set _ZN9rocsolver6v33100L9get_arrayI19rocblas_complex_numIfEiEEvPPT_S5_lT0_.has_recursion, 0
	.set _ZN9rocsolver6v33100L9get_arrayI19rocblas_complex_numIfEiEEvPPT_S5_lT0_.has_indirect_call, 0
	.section	.AMDGPU.csdata,"",@progbits
; Kernel info:
; codeLenInByte = 156
; TotalNumSgprs: 12
; NumVgprs: 7
; ScratchSize: 0
; MemoryBound: 0
; FloatMode: 240
; IeeeMode: 1
; LDSByteSize: 0 bytes/workgroup (compile time only)
; SGPRBlocks: 1
; VGPRBlocks: 1
; NumSGPRsForWavesPerEU: 12
; NumVGPRsForWavesPerEU: 7
; Occupancy: 10
; WaveLimiterHint : 0
; COMPUTE_PGM_RSRC2:SCRATCH_EN: 0
; COMPUTE_PGM_RSRC2:USER_SGPR: 6
; COMPUTE_PGM_RSRC2:TRAP_HANDLER: 0
; COMPUTE_PGM_RSRC2:TGID_X_EN: 1
; COMPUTE_PGM_RSRC2:TGID_Y_EN: 0
; COMPUTE_PGM_RSRC2:TGID_Z_EN: 0
; COMPUTE_PGM_RSRC2:TIDIG_COMP_CNT: 0
	.section	.text._ZN9rocsolver6v33100L12restore_diagI19rocblas_complex_numIfEifPKPS3_EEvPT1_llT2_lT0_lSA_,"axG",@progbits,_ZN9rocsolver6v33100L12restore_diagI19rocblas_complex_numIfEifPKPS3_EEvPT1_llT2_lT0_lSA_,comdat
	.globl	_ZN9rocsolver6v33100L12restore_diagI19rocblas_complex_numIfEifPKPS3_EEvPT1_llT2_lT0_lSA_ ; -- Begin function _ZN9rocsolver6v33100L12restore_diagI19rocblas_complex_numIfEifPKPS3_EEvPT1_llT2_lT0_lSA_
	.p2align	8
	.type	_ZN9rocsolver6v33100L12restore_diagI19rocblas_complex_numIfEifPKPS3_EEvPT1_llT2_lT0_lSA_,@function
_ZN9rocsolver6v33100L12restore_diagI19rocblas_complex_numIfEifPKPS3_EEvPT1_llT2_lT0_lSA_: ; @_ZN9rocsolver6v33100L12restore_diagI19rocblas_complex_numIfEifPKPS3_EEvPT1_llT2_lT0_lSA_
; %bb.0:
	s_load_dword s0, s[4:5], 0x4c
	s_load_dword s1, s[4:5], 0x38
	s_waitcnt lgkmcnt(0)
	s_lshr_b32 s0, s0, 16
	s_mul_i32 s7, s7, s0
	v_add_u32_e32 v0, s7, v1
	v_cmp_gt_i32_e32 vcc, s1, v0
	s_and_saveexec_b64 s[0:1], vcc
	s_cbranch_execz .LBB41_2
; %bb.1:
	s_load_dwordx8 s[8:15], s[4:5], 0x0
	s_load_dwordx2 s[0:1], s[4:5], 0x20
	s_ashr_i32 s7, s6, 31
	s_lshl_b64 s[2:3], s[6:7], 3
	s_waitcnt lgkmcnt(0)
	s_add_u32 s2, s14, s2
	s_addc_u32 s3, s15, s3
	s_load_dwordx2 s[14:15], s[2:3], 0x0
	s_load_dword s16, s[4:5], 0x28
	s_lshl_b64 s[0:1], s[0:1], 3
	s_mul_hi_u32 s2, s12, s6
	s_mul_i32 s3, s12, s7
	s_waitcnt lgkmcnt(0)
	s_add_u32 s4, s14, s0
	s_addc_u32 s5, s15, s1
	s_add_i32 s0, s2, s3
	s_mul_i32 s1, s13, s6
	s_add_i32 s1, s0, s1
	s_mul_i32 s0, s12, s6
	s_lshl_b64 s[0:1], s[0:1], 2
	s_add_u32 s2, s8, s0
	s_addc_u32 s3, s9, s1
	s_lshl_b64 s[0:1], s[10:11], 2
	s_add_u32 s2, s2, s0
	s_addc_u32 s3, s3, s1
	v_mad_u64_u32 v[2:3], s[0:1], v0, s16, v[0:1]
	v_ashrrev_i32_e32 v1, 31, v0
	v_lshlrev_b64 v[0:1], 2, v[0:1]
	v_mov_b32_e32 v3, s3
	v_add_co_u32_e32 v0, vcc, s2, v0
	v_addc_co_u32_e32 v1, vcc, v3, v1, vcc
	global_load_dword v0, v[0:1], off
	v_ashrrev_i32_e32 v3, 31, v2
	v_lshlrev_b64 v[1:2], 3, v[2:3]
	v_mov_b32_e32 v4, s5
	v_add_co_u32_e32 v3, vcc, s4, v1
	v_addc_co_u32_e32 v4, vcc, v4, v2, vcc
	v_mov_b32_e32 v1, 0
	s_waitcnt vmcnt(0)
	flat_store_dwordx2 v[3:4], v[0:1]
.LBB41_2:
	s_endpgm
	.section	.rodata,"a",@progbits
	.p2align	6, 0x0
	.amdhsa_kernel _ZN9rocsolver6v33100L12restore_diagI19rocblas_complex_numIfEifPKPS3_EEvPT1_llT2_lT0_lSA_
		.amdhsa_group_segment_fixed_size 0
		.amdhsa_private_segment_fixed_size 0
		.amdhsa_kernarg_size 320
		.amdhsa_user_sgpr_count 6
		.amdhsa_user_sgpr_private_segment_buffer 1
		.amdhsa_user_sgpr_dispatch_ptr 0
		.amdhsa_user_sgpr_queue_ptr 0
		.amdhsa_user_sgpr_kernarg_segment_ptr 1
		.amdhsa_user_sgpr_dispatch_id 0
		.amdhsa_user_sgpr_flat_scratch_init 0
		.amdhsa_user_sgpr_private_segment_size 0
		.amdhsa_uses_dynamic_stack 0
		.amdhsa_system_sgpr_private_segment_wavefront_offset 0
		.amdhsa_system_sgpr_workgroup_id_x 1
		.amdhsa_system_sgpr_workgroup_id_y 1
		.amdhsa_system_sgpr_workgroup_id_z 0
		.amdhsa_system_sgpr_workgroup_info 0
		.amdhsa_system_vgpr_workitem_id 1
		.amdhsa_next_free_vgpr 5
		.amdhsa_next_free_sgpr 17
		.amdhsa_reserve_vcc 1
		.amdhsa_reserve_flat_scratch 0
		.amdhsa_float_round_mode_32 0
		.amdhsa_float_round_mode_16_64 0
		.amdhsa_float_denorm_mode_32 3
		.amdhsa_float_denorm_mode_16_64 3
		.amdhsa_dx10_clamp 1
		.amdhsa_ieee_mode 1
		.amdhsa_fp16_overflow 0
		.amdhsa_exception_fp_ieee_invalid_op 0
		.amdhsa_exception_fp_denorm_src 0
		.amdhsa_exception_fp_ieee_div_zero 0
		.amdhsa_exception_fp_ieee_overflow 0
		.amdhsa_exception_fp_ieee_underflow 0
		.amdhsa_exception_fp_ieee_inexact 0
		.amdhsa_exception_int_div_zero 0
	.end_amdhsa_kernel
	.section	.text._ZN9rocsolver6v33100L12restore_diagI19rocblas_complex_numIfEifPKPS3_EEvPT1_llT2_lT0_lSA_,"axG",@progbits,_ZN9rocsolver6v33100L12restore_diagI19rocblas_complex_numIfEifPKPS3_EEvPT1_llT2_lT0_lSA_,comdat
.Lfunc_end41:
	.size	_ZN9rocsolver6v33100L12restore_diagI19rocblas_complex_numIfEifPKPS3_EEvPT1_llT2_lT0_lSA_, .Lfunc_end41-_ZN9rocsolver6v33100L12restore_diagI19rocblas_complex_numIfEifPKPS3_EEvPT1_llT2_lT0_lSA_
                                        ; -- End function
	.set _ZN9rocsolver6v33100L12restore_diagI19rocblas_complex_numIfEifPKPS3_EEvPT1_llT2_lT0_lSA_.num_vgpr, 5
	.set _ZN9rocsolver6v33100L12restore_diagI19rocblas_complex_numIfEifPKPS3_EEvPT1_llT2_lT0_lSA_.num_agpr, 0
	.set _ZN9rocsolver6v33100L12restore_diagI19rocblas_complex_numIfEifPKPS3_EEvPT1_llT2_lT0_lSA_.numbered_sgpr, 17
	.set _ZN9rocsolver6v33100L12restore_diagI19rocblas_complex_numIfEifPKPS3_EEvPT1_llT2_lT0_lSA_.num_named_barrier, 0
	.set _ZN9rocsolver6v33100L12restore_diagI19rocblas_complex_numIfEifPKPS3_EEvPT1_llT2_lT0_lSA_.private_seg_size, 0
	.set _ZN9rocsolver6v33100L12restore_diagI19rocblas_complex_numIfEifPKPS3_EEvPT1_llT2_lT0_lSA_.uses_vcc, 1
	.set _ZN9rocsolver6v33100L12restore_diagI19rocblas_complex_numIfEifPKPS3_EEvPT1_llT2_lT0_lSA_.uses_flat_scratch, 0
	.set _ZN9rocsolver6v33100L12restore_diagI19rocblas_complex_numIfEifPKPS3_EEvPT1_llT2_lT0_lSA_.has_dyn_sized_stack, 0
	.set _ZN9rocsolver6v33100L12restore_diagI19rocblas_complex_numIfEifPKPS3_EEvPT1_llT2_lT0_lSA_.has_recursion, 0
	.set _ZN9rocsolver6v33100L12restore_diagI19rocblas_complex_numIfEifPKPS3_EEvPT1_llT2_lT0_lSA_.has_indirect_call, 0
	.section	.AMDGPU.csdata,"",@progbits
; Kernel info:
; codeLenInByte = 244
; TotalNumSgprs: 21
; NumVgprs: 5
; ScratchSize: 0
; MemoryBound: 0
; FloatMode: 240
; IeeeMode: 1
; LDSByteSize: 0 bytes/workgroup (compile time only)
; SGPRBlocks: 2
; VGPRBlocks: 1
; NumSGPRsForWavesPerEU: 21
; NumVGPRsForWavesPerEU: 5
; Occupancy: 10
; WaveLimiterHint : 1
; COMPUTE_PGM_RSRC2:SCRATCH_EN: 0
; COMPUTE_PGM_RSRC2:USER_SGPR: 6
; COMPUTE_PGM_RSRC2:TRAP_HANDLER: 0
; COMPUTE_PGM_RSRC2:TGID_X_EN: 1
; COMPUTE_PGM_RSRC2:TGID_Y_EN: 1
; COMPUTE_PGM_RSRC2:TGID_Z_EN: 0
; COMPUTE_PGM_RSRC2:TIDIG_COMP_CNT: 1
	.section	.text._ZN9rocsolver6v33100L13larft_set_triI19rocblas_complex_numIfEPKPS3_EEv13rocblas_fill_iT0_iilPT_,"axG",@progbits,_ZN9rocsolver6v33100L13larft_set_triI19rocblas_complex_numIfEPKPS3_EEv13rocblas_fill_iT0_iilPT_,comdat
	.globl	_ZN9rocsolver6v33100L13larft_set_triI19rocblas_complex_numIfEPKPS3_EEv13rocblas_fill_iT0_iilPT_ ; -- Begin function _ZN9rocsolver6v33100L13larft_set_triI19rocblas_complex_numIfEPKPS3_EEv13rocblas_fill_iT0_iilPT_
	.p2align	8
	.type	_ZN9rocsolver6v33100L13larft_set_triI19rocblas_complex_numIfEPKPS3_EEv13rocblas_fill_iT0_iilPT_,@function
_ZN9rocsolver6v33100L13larft_set_triI19rocblas_complex_numIfEPKPS3_EEv13rocblas_fill_iT0_iilPT_: ; @_ZN9rocsolver6v33100L13larft_set_triI19rocblas_complex_numIfEPKPS3_EEv13rocblas_fill_iT0_iilPT_
; %bb.0:
	s_load_dword s2, s[4:5], 0x34
	s_load_dwordx2 s[0:1], s[4:5], 0x0
	s_waitcnt lgkmcnt(0)
	s_lshr_b32 s3, s2, 16
	s_and_b32 s2, s2, 0xffff
	s_mul_i32 s7, s7, s3
	s_mul_i32 s6, s6, s2
	v_add_u32_e32 v1, s7, v1
	v_add_u32_e32 v0, s6, v0
	v_max_u32_e32 v2, v1, v0
	v_cmp_gt_u32_e32 vcc, s1, v2
	s_and_saveexec_b64 s[2:3], vcc
	s_cbranch_execz .LBB42_3
; %bb.1:
	s_cmpk_lg_i32 s0, 0x7a
	s_cselect_b64 s[2:3], -1, 0
	s_cmpk_lg_i32 s0, 0x79
	s_cselect_b64 s[6:7], -1, 0
	v_cmp_lt_u32_e32 vcc, v1, v0
	s_or_b64 s[6:7], s[6:7], vcc
	v_cmp_lt_u32_e32 vcc, v0, v1
	s_or_b64 s[2:3], s[2:3], vcc
	s_and_b64 s[2:3], s[6:7], s[2:3]
	s_xor_b64 s[2:3], s[2:3], -1
	s_and_b64 exec, exec, s[2:3]
	s_cbranch_execz .LBB42_3
; %bb.2:
	s_load_dwordx4 s[12:15], s[4:5], 0x8
	s_load_dwordx2 s[2:3], s[4:5], 0x20
	s_mov_b32 s9, 0
	s_ashr_i32 s0, s1, 31
	s_lshl_b64 s[4:5], s[8:9], 3
	s_waitcnt lgkmcnt(0)
	s_ashr_i32 s7, s14, 31
	s_add_u32 s4, s12, s4
	s_addc_u32 s5, s13, s5
	s_load_dwordx2 s[4:5], s[4:5], 0x0
	v_mad_u64_u32 v[2:3], s[10:11], v1, s15, v[0:1]
	s_mov_b32 s6, s14
	s_lshl_b64 s[6:7], s[6:7], 3
	v_mov_b32_e32 v3, 0
	s_waitcnt lgkmcnt(0)
	s_add_u32 s4, s4, s6
	v_lshlrev_b64 v[4:5], 3, v[2:3]
	s_addc_u32 s5, s5, s7
	v_mov_b32_e32 v2, s5
	v_add_co_u32_e32 v4, vcc, s4, v4
	v_addc_co_u32_e32 v5, vcc, v2, v5, vcc
	flat_load_dwordx2 v[6:7], v[4:5]
	v_mad_u64_u32 v[8:9], s[4:5], v1, s1, v[0:1]
	s_mul_hi_u32 s6, s1, s8
	s_mul_i32 s7, s1, s8
	s_mul_i32 s4, s0, s8
	;; [unrolled: 1-line block ×3, first 2 shown]
	s_mul_hi_u32 s8, s7, s1
	s_add_i32 s4, s6, s4
	s_add_i32 s5, s8, s5
	s_mul_i32 s4, s4, s1
	s_mul_i32 s0, s7, s1
	s_add_i32 s1, s5, s4
	v_mov_b32_e32 v9, v3
	s_lshl_b64 s[0:1], s[0:1], 3
	v_lshlrev_b64 v[8:9], 3, v[8:9]
	s_add_u32 s0, s2, s0
	v_cmp_eq_u32_e32 vcc, v0, v1
	s_addc_u32 s1, s3, s1
	v_cndmask_b32_e64 v2, 0, 1.0, vcc
	v_mov_b32_e32 v1, s1
	v_add_co_u32_e32 v0, vcc, s0, v8
	v_addc_co_u32_e32 v1, vcc, v1, v9, vcc
	s_waitcnt vmcnt(0) lgkmcnt(0)
	global_store_dwordx2 v[0:1], v[6:7], off
	flat_store_dwordx2 v[4:5], v[2:3]
.LBB42_3:
	s_endpgm
	.section	.rodata,"a",@progbits
	.p2align	6, 0x0
	.amdhsa_kernel _ZN9rocsolver6v33100L13larft_set_triI19rocblas_complex_numIfEPKPS3_EEv13rocblas_fill_iT0_iilPT_
		.amdhsa_group_segment_fixed_size 0
		.amdhsa_private_segment_fixed_size 0
		.amdhsa_kernarg_size 296
		.amdhsa_user_sgpr_count 6
		.amdhsa_user_sgpr_private_segment_buffer 1
		.amdhsa_user_sgpr_dispatch_ptr 0
		.amdhsa_user_sgpr_queue_ptr 0
		.amdhsa_user_sgpr_kernarg_segment_ptr 1
		.amdhsa_user_sgpr_dispatch_id 0
		.amdhsa_user_sgpr_flat_scratch_init 0
		.amdhsa_user_sgpr_private_segment_size 0
		.amdhsa_uses_dynamic_stack 0
		.amdhsa_system_sgpr_private_segment_wavefront_offset 0
		.amdhsa_system_sgpr_workgroup_id_x 1
		.amdhsa_system_sgpr_workgroup_id_y 1
		.amdhsa_system_sgpr_workgroup_id_z 1
		.amdhsa_system_sgpr_workgroup_info 0
		.amdhsa_system_vgpr_workitem_id 1
		.amdhsa_next_free_vgpr 10
		.amdhsa_next_free_sgpr 16
		.amdhsa_reserve_vcc 1
		.amdhsa_reserve_flat_scratch 0
		.amdhsa_float_round_mode_32 0
		.amdhsa_float_round_mode_16_64 0
		.amdhsa_float_denorm_mode_32 3
		.amdhsa_float_denorm_mode_16_64 3
		.amdhsa_dx10_clamp 1
		.amdhsa_ieee_mode 1
		.amdhsa_fp16_overflow 0
		.amdhsa_exception_fp_ieee_invalid_op 0
		.amdhsa_exception_fp_denorm_src 0
		.amdhsa_exception_fp_ieee_div_zero 0
		.amdhsa_exception_fp_ieee_overflow 0
		.amdhsa_exception_fp_ieee_underflow 0
		.amdhsa_exception_fp_ieee_inexact 0
		.amdhsa_exception_int_div_zero 0
	.end_amdhsa_kernel
	.section	.text._ZN9rocsolver6v33100L13larft_set_triI19rocblas_complex_numIfEPKPS3_EEv13rocblas_fill_iT0_iilPT_,"axG",@progbits,_ZN9rocsolver6v33100L13larft_set_triI19rocblas_complex_numIfEPKPS3_EEv13rocblas_fill_iT0_iilPT_,comdat
.Lfunc_end42:
	.size	_ZN9rocsolver6v33100L13larft_set_triI19rocblas_complex_numIfEPKPS3_EEv13rocblas_fill_iT0_iilPT_, .Lfunc_end42-_ZN9rocsolver6v33100L13larft_set_triI19rocblas_complex_numIfEPKPS3_EEv13rocblas_fill_iT0_iilPT_
                                        ; -- End function
	.set _ZN9rocsolver6v33100L13larft_set_triI19rocblas_complex_numIfEPKPS3_EEv13rocblas_fill_iT0_iilPT_.num_vgpr, 10
	.set _ZN9rocsolver6v33100L13larft_set_triI19rocblas_complex_numIfEPKPS3_EEv13rocblas_fill_iT0_iilPT_.num_agpr, 0
	.set _ZN9rocsolver6v33100L13larft_set_triI19rocblas_complex_numIfEPKPS3_EEv13rocblas_fill_iT0_iilPT_.numbered_sgpr, 16
	.set _ZN9rocsolver6v33100L13larft_set_triI19rocblas_complex_numIfEPKPS3_EEv13rocblas_fill_iT0_iilPT_.num_named_barrier, 0
	.set _ZN9rocsolver6v33100L13larft_set_triI19rocblas_complex_numIfEPKPS3_EEv13rocblas_fill_iT0_iilPT_.private_seg_size, 0
	.set _ZN9rocsolver6v33100L13larft_set_triI19rocblas_complex_numIfEPKPS3_EEv13rocblas_fill_iT0_iilPT_.uses_vcc, 1
	.set _ZN9rocsolver6v33100L13larft_set_triI19rocblas_complex_numIfEPKPS3_EEv13rocblas_fill_iT0_iilPT_.uses_flat_scratch, 0
	.set _ZN9rocsolver6v33100L13larft_set_triI19rocblas_complex_numIfEPKPS3_EEv13rocblas_fill_iT0_iilPT_.has_dyn_sized_stack, 0
	.set _ZN9rocsolver6v33100L13larft_set_triI19rocblas_complex_numIfEPKPS3_EEv13rocblas_fill_iT0_iilPT_.has_recursion, 0
	.set _ZN9rocsolver6v33100L13larft_set_triI19rocblas_complex_numIfEPKPS3_EEv13rocblas_fill_iT0_iilPT_.has_indirect_call, 0
	.section	.AMDGPU.csdata,"",@progbits
; Kernel info:
; codeLenInByte = 344
; TotalNumSgprs: 20
; NumVgprs: 10
; ScratchSize: 0
; MemoryBound: 0
; FloatMode: 240
; IeeeMode: 1
; LDSByteSize: 0 bytes/workgroup (compile time only)
; SGPRBlocks: 2
; VGPRBlocks: 2
; NumSGPRsForWavesPerEU: 20
; NumVGPRsForWavesPerEU: 10
; Occupancy: 10
; WaveLimiterHint : 1
; COMPUTE_PGM_RSRC2:SCRATCH_EN: 0
; COMPUTE_PGM_RSRC2:USER_SGPR: 6
; COMPUTE_PGM_RSRC2:TRAP_HANDLER: 0
; COMPUTE_PGM_RSRC2:TGID_X_EN: 1
; COMPUTE_PGM_RSRC2:TGID_Y_EN: 1
; COMPUTE_PGM_RSRC2:TGID_Z_EN: 1
; COMPUTE_PGM_RSRC2:TIDIG_COMP_CNT: 1
	.section	.text._ZN9rocsolver6v33100L14larft_set_diagI19rocblas_complex_numIfEEEviPT_lS5_il,"axG",@progbits,_ZN9rocsolver6v33100L14larft_set_diagI19rocblas_complex_numIfEEEviPT_lS5_il,comdat
	.globl	_ZN9rocsolver6v33100L14larft_set_diagI19rocblas_complex_numIfEEEviPT_lS5_il ; -- Begin function _ZN9rocsolver6v33100L14larft_set_diagI19rocblas_complex_numIfEEEviPT_lS5_il
	.p2align	8
	.type	_ZN9rocsolver6v33100L14larft_set_diagI19rocblas_complex_numIfEEEviPT_lS5_il,@function
_ZN9rocsolver6v33100L14larft_set_diagI19rocblas_complex_numIfEEEviPT_lS5_il: ; @_ZN9rocsolver6v33100L14larft_set_diagI19rocblas_complex_numIfEEEviPT_lS5_il
; %bb.0:
	s_load_dword s0, s[4:5], 0x3c
	s_load_dword s1, s[4:5], 0x0
	s_waitcnt lgkmcnt(0)
	s_and_b32 s0, s0, 0xffff
	s_mul_i32 s6, s6, s0
	v_add_u32_e32 v0, s6, v0
	v_cmp_gt_u32_e32 vcc, s1, v0
	s_and_saveexec_b64 s[0:1], vcc
	s_cbranch_execz .LBB43_6
; %bb.1:
	s_load_dwordx4 s[8:11], s[4:5], 0x8
	s_load_dwordx2 s[0:1], s[4:5], 0x18
	v_mov_b32_e32 v1, 0
	v_lshlrev_b64 v[1:2], 3, v[0:1]
	s_waitcnt lgkmcnt(0)
	s_mul_i32 s3, s11, s7
	s_mul_hi_u32 s6, s10, s7
	s_mul_i32 s2, s10, s7
	s_add_i32 s3, s6, s3
	s_lshl_b64 s[2:3], s[2:3], 3
	s_add_u32 s2, s8, s2
	s_addc_u32 s3, s9, s3
	v_mov_b32_e32 v3, s3
	v_add_co_u32_e32 v1, vcc, s2, v1
	v_addc_co_u32_e32 v2, vcc, v3, v2, vcc
	global_load_dwordx2 v[1:2], v[1:2], off
                                        ; implicit-def: $vgpr3
	s_waitcnt vmcnt(0)
	v_cmp_ngt_f32_e64 s[2:3], |v1|, |v2|
	s_and_saveexec_b64 s[8:9], s[2:3]
	s_xor_b64 s[2:3], exec, s[8:9]
	s_cbranch_execz .LBB43_3
; %bb.2:
	v_div_scale_f32 v3, s[8:9], v2, v2, v1
	v_div_scale_f32 v4, vcc, v1, v2, v1
	v_rcp_f32_e32 v5, v3
	v_fma_f32 v6, -v3, v5, 1.0
	v_fmac_f32_e32 v5, v6, v5
	v_mul_f32_e32 v6, v4, v5
	v_fma_f32 v7, -v3, v6, v4
	v_fmac_f32_e32 v6, v7, v5
	v_fma_f32 v3, -v3, v6, v4
	v_div_fmas_f32 v3, v3, v5, v6
	v_div_fixup_f32 v3, v3, v2, v1
	v_fmac_f32_e32 v2, v1, v3
	v_div_scale_f32 v1, s[8:9], v2, v2, 1.0
	v_div_scale_f32 v4, vcc, 1.0, v2, 1.0
	v_rcp_f32_e32 v5, v1
	v_fma_f32 v6, -v1, v5, 1.0
	v_fmac_f32_e32 v5, v6, v5
	v_mul_f32_e32 v6, v4, v5
	v_fma_f32 v7, -v1, v6, v4
	v_fmac_f32_e32 v6, v7, v5
	v_fma_f32 v1, -v1, v6, v4
	v_div_fmas_f32 v1, v1, v5, v6
	v_div_fixup_f32 v1, v1, v2, 1.0
	v_mul_f32_e32 v3, v3, v1
	v_xor_b32_e32 v4, 0x80000000, v1
                                        ; implicit-def: $vgpr1_vgpr2
.LBB43_3:
	s_andn2_saveexec_b64 s[2:3], s[2:3]
	s_cbranch_execz .LBB43_5
; %bb.4:
	v_div_scale_f32 v3, s[8:9], v1, v1, v2
	v_div_scale_f32 v4, vcc, v2, v1, v2
	v_rcp_f32_e32 v5, v3
	v_fma_f32 v6, -v3, v5, 1.0
	v_fmac_f32_e32 v5, v6, v5
	v_mul_f32_e32 v6, v4, v5
	v_fma_f32 v7, -v3, v6, v4
	v_fmac_f32_e32 v6, v7, v5
	v_fma_f32 v3, -v3, v6, v4
	v_div_fmas_f32 v3, v3, v5, v6
	v_div_fixup_f32 v4, v3, v1, v2
	v_fmac_f32_e32 v1, v2, v4
	v_div_scale_f32 v2, s[8:9], v1, v1, 1.0
	v_div_scale_f32 v3, vcc, 1.0, v1, 1.0
	v_rcp_f32_e32 v5, v2
	v_fma_f32 v6, -v2, v5, 1.0
	v_fmac_f32_e32 v5, v6, v5
	v_mul_f32_e32 v6, v3, v5
	v_fma_f32 v7, -v2, v6, v3
	v_fmac_f32_e32 v6, v7, v5
	v_fma_f32 v2, -v2, v6, v3
	v_div_fmas_f32 v2, v2, v5, v6
	v_div_fixup_f32 v3, v2, v1, 1.0
	v_mul_f32_e64 v4, v4, -v3
.LBB43_5:
	s_or_b64 exec, exec, s[2:3]
	s_load_dwordx2 s[2:3], s[4:5], 0x28
	s_load_dword s6, s[4:5], 0x20
	s_waitcnt lgkmcnt(0)
	s_mul_i32 s3, s3, s7
	s_mul_hi_u32 s4, s2, s7
	s_add_i32 s3, s4, s3
	v_mad_u64_u32 v[0:1], s[4:5], v0, s6, v[0:1]
	s_mul_i32 s2, s2, s7
	s_lshl_b64 s[2:3], s[2:3], 3
	v_mov_b32_e32 v1, 0
	s_add_u32 s0, s0, s2
	v_lshlrev_b64 v[0:1], 3, v[0:1]
	s_addc_u32 s1, s1, s3
	v_mov_b32_e32 v2, s1
	v_add_co_u32_e32 v0, vcc, s0, v0
	v_addc_co_u32_e32 v1, vcc, v2, v1, vcc
	global_store_dwordx2 v[0:1], v[3:4], off
.LBB43_6:
	s_endpgm
	.section	.rodata,"a",@progbits
	.p2align	6, 0x0
	.amdhsa_kernel _ZN9rocsolver6v33100L14larft_set_diagI19rocblas_complex_numIfEEEviPT_lS5_il
		.amdhsa_group_segment_fixed_size 0
		.amdhsa_private_segment_fixed_size 0
		.amdhsa_kernarg_size 304
		.amdhsa_user_sgpr_count 6
		.amdhsa_user_sgpr_private_segment_buffer 1
		.amdhsa_user_sgpr_dispatch_ptr 0
		.amdhsa_user_sgpr_queue_ptr 0
		.amdhsa_user_sgpr_kernarg_segment_ptr 1
		.amdhsa_user_sgpr_dispatch_id 0
		.amdhsa_user_sgpr_flat_scratch_init 0
		.amdhsa_user_sgpr_private_segment_size 0
		.amdhsa_uses_dynamic_stack 0
		.amdhsa_system_sgpr_private_segment_wavefront_offset 0
		.amdhsa_system_sgpr_workgroup_id_x 1
		.amdhsa_system_sgpr_workgroup_id_y 0
		.amdhsa_system_sgpr_workgroup_id_z 1
		.amdhsa_system_sgpr_workgroup_info 0
		.amdhsa_system_vgpr_workitem_id 0
		.amdhsa_next_free_vgpr 8
		.amdhsa_next_free_sgpr 12
		.amdhsa_reserve_vcc 1
		.amdhsa_reserve_flat_scratch 0
		.amdhsa_float_round_mode_32 0
		.amdhsa_float_round_mode_16_64 0
		.amdhsa_float_denorm_mode_32 3
		.amdhsa_float_denorm_mode_16_64 3
		.amdhsa_dx10_clamp 1
		.amdhsa_ieee_mode 1
		.amdhsa_fp16_overflow 0
		.amdhsa_exception_fp_ieee_invalid_op 0
		.amdhsa_exception_fp_denorm_src 0
		.amdhsa_exception_fp_ieee_div_zero 0
		.amdhsa_exception_fp_ieee_overflow 0
		.amdhsa_exception_fp_ieee_underflow 0
		.amdhsa_exception_fp_ieee_inexact 0
		.amdhsa_exception_int_div_zero 0
	.end_amdhsa_kernel
	.section	.text._ZN9rocsolver6v33100L14larft_set_diagI19rocblas_complex_numIfEEEviPT_lS5_il,"axG",@progbits,_ZN9rocsolver6v33100L14larft_set_diagI19rocblas_complex_numIfEEEviPT_lS5_il,comdat
.Lfunc_end43:
	.size	_ZN9rocsolver6v33100L14larft_set_diagI19rocblas_complex_numIfEEEviPT_lS5_il, .Lfunc_end43-_ZN9rocsolver6v33100L14larft_set_diagI19rocblas_complex_numIfEEEviPT_lS5_il
                                        ; -- End function
	.set _ZN9rocsolver6v33100L14larft_set_diagI19rocblas_complex_numIfEEEviPT_lS5_il.num_vgpr, 8
	.set _ZN9rocsolver6v33100L14larft_set_diagI19rocblas_complex_numIfEEEviPT_lS5_il.num_agpr, 0
	.set _ZN9rocsolver6v33100L14larft_set_diagI19rocblas_complex_numIfEEEviPT_lS5_il.numbered_sgpr, 12
	.set _ZN9rocsolver6v33100L14larft_set_diagI19rocblas_complex_numIfEEEviPT_lS5_il.num_named_barrier, 0
	.set _ZN9rocsolver6v33100L14larft_set_diagI19rocblas_complex_numIfEEEviPT_lS5_il.private_seg_size, 0
	.set _ZN9rocsolver6v33100L14larft_set_diagI19rocblas_complex_numIfEEEviPT_lS5_il.uses_vcc, 1
	.set _ZN9rocsolver6v33100L14larft_set_diagI19rocblas_complex_numIfEEEviPT_lS5_il.uses_flat_scratch, 0
	.set _ZN9rocsolver6v33100L14larft_set_diagI19rocblas_complex_numIfEEEviPT_lS5_il.has_dyn_sized_stack, 0
	.set _ZN9rocsolver6v33100L14larft_set_diagI19rocblas_complex_numIfEEEviPT_lS5_il.has_recursion, 0
	.set _ZN9rocsolver6v33100L14larft_set_diagI19rocblas_complex_numIfEEEviPT_lS5_il.has_indirect_call, 0
	.section	.AMDGPU.csdata,"",@progbits
; Kernel info:
; codeLenInByte = 572
; TotalNumSgprs: 16
; NumVgprs: 8
; ScratchSize: 0
; MemoryBound: 0
; FloatMode: 240
; IeeeMode: 1
; LDSByteSize: 0 bytes/workgroup (compile time only)
; SGPRBlocks: 1
; VGPRBlocks: 1
; NumSGPRsForWavesPerEU: 16
; NumVGPRsForWavesPerEU: 8
; Occupancy: 10
; WaveLimiterHint : 0
; COMPUTE_PGM_RSRC2:SCRATCH_EN: 0
; COMPUTE_PGM_RSRC2:USER_SGPR: 6
; COMPUTE_PGM_RSRC2:TRAP_HANDLER: 0
; COMPUTE_PGM_RSRC2:TGID_X_EN: 1
; COMPUTE_PGM_RSRC2:TGID_Y_EN: 0
; COMPUTE_PGM_RSRC2:TGID_Z_EN: 1
; COMPUTE_PGM_RSRC2:TIDIG_COMP_CNT: 0
	.section	.text._ZN9rocsolver6v33100L17larft_restore_triI19rocblas_complex_numIfEPKPS3_EEv13rocblas_fill_iT0_iilPT_,"axG",@progbits,_ZN9rocsolver6v33100L17larft_restore_triI19rocblas_complex_numIfEPKPS3_EEv13rocblas_fill_iT0_iilPT_,comdat
	.globl	_ZN9rocsolver6v33100L17larft_restore_triI19rocblas_complex_numIfEPKPS3_EEv13rocblas_fill_iT0_iilPT_ ; -- Begin function _ZN9rocsolver6v33100L17larft_restore_triI19rocblas_complex_numIfEPKPS3_EEv13rocblas_fill_iT0_iilPT_
	.p2align	8
	.type	_ZN9rocsolver6v33100L17larft_restore_triI19rocblas_complex_numIfEPKPS3_EEv13rocblas_fill_iT0_iilPT_,@function
_ZN9rocsolver6v33100L17larft_restore_triI19rocblas_complex_numIfEPKPS3_EEv13rocblas_fill_iT0_iilPT_: ; @_ZN9rocsolver6v33100L17larft_restore_triI19rocblas_complex_numIfEPKPS3_EEv13rocblas_fill_iT0_iilPT_
; %bb.0:
	s_load_dword s0, s[4:5], 0x34
	s_load_dwordx2 s[10:11], s[4:5], 0x0
	s_waitcnt lgkmcnt(0)
	s_lshr_b32 s1, s0, 16
	s_and_b32 s0, s0, 0xffff
	s_mul_i32 s7, s7, s1
	s_mul_i32 s6, s6, s0
	v_add_u32_e32 v1, s7, v1
	v_add_u32_e32 v0, s6, v0
	v_max_u32_e32 v2, v1, v0
	v_cmp_gt_u32_e32 vcc, s11, v2
	s_and_saveexec_b64 s[0:1], vcc
	s_cbranch_execz .LBB44_3
; %bb.1:
	s_cmpk_lg_i32 s10, 0x7a
	s_cselect_b64 s[0:1], -1, 0
	s_cmpk_lg_i32 s10, 0x79
	s_cselect_b64 s[2:3], -1, 0
	v_cmp_lt_u32_e32 vcc, v1, v0
	s_or_b64 s[2:3], s[2:3], vcc
	v_cmp_lt_u32_e32 vcc, v0, v1
	s_or_b64 s[0:1], s[0:1], vcc
	s_and_b64 s[0:1], s[2:3], s[0:1]
	s_xor_b64 s[0:1], s[0:1], -1
	s_and_b64 exec, exec, s[0:1]
	s_cbranch_execz .LBB44_3
; %bb.2:
	s_load_dwordx4 s[0:3], s[4:5], 0x8
	s_load_dwordx2 s[6:7], s[4:5], 0x20
	s_mov_b32 s9, 0
	s_ashr_i32 s10, s11, 31
	s_lshl_b64 s[4:5], s[8:9], 3
	s_waitcnt lgkmcnt(0)
	s_ashr_i32 s13, s2, 31
	s_add_u32 s0, s0, s4
	s_addc_u32 s1, s1, s5
	s_load_dwordx2 s[0:1], s[0:1], 0x0
	s_mov_b32 s12, s2
	s_lshl_b64 s[4:5], s[12:13], 3
	s_mul_hi_u32 s9, s11, s8
	s_mul_i32 s14, s10, s8
	s_waitcnt lgkmcnt(0)
	s_add_u32 s2, s0, s4
	s_mul_i32 s4, s11, s8
	s_addc_u32 s12, s1, s5
	s_add_i32 s0, s9, s14
	s_mul_i32 s1, s4, s10
	s_mul_hi_u32 s5, s4, s11
	s_add_i32 s1, s5, s1
	s_mul_i32 s0, s0, s11
	s_add_i32 s1, s1, s0
	s_mul_i32 s0, s4, s11
	v_mad_u64_u32 v[2:3], s[4:5], v1, s11, v[0:1]
	s_lshl_b64 s[0:1], s[0:1], 3
	v_mov_b32_e32 v3, 0
	s_add_u32 s0, s6, s0
	v_lshlrev_b64 v[4:5], 3, v[2:3]
	s_addc_u32 s1, s7, s1
	v_mov_b32_e32 v2, s1
	v_add_co_u32_e32 v4, vcc, s0, v4
	v_addc_co_u32_e32 v5, vcc, v2, v5, vcc
	global_load_dwordx2 v[4:5], v[4:5], off
	v_mad_u64_u32 v[0:1], s[0:1], v1, s3, v[0:1]
	v_mov_b32_e32 v1, v3
	v_mov_b32_e32 v2, s12
	v_lshlrev_b64 v[0:1], 3, v[0:1]
	v_add_co_u32_e32 v0, vcc, s2, v0
	v_addc_co_u32_e32 v1, vcc, v2, v1, vcc
	s_waitcnt vmcnt(0)
	flat_store_dwordx2 v[0:1], v[4:5]
.LBB44_3:
	s_endpgm
	.section	.rodata,"a",@progbits
	.p2align	6, 0x0
	.amdhsa_kernel _ZN9rocsolver6v33100L17larft_restore_triI19rocblas_complex_numIfEPKPS3_EEv13rocblas_fill_iT0_iilPT_
		.amdhsa_group_segment_fixed_size 0
		.amdhsa_private_segment_fixed_size 0
		.amdhsa_kernarg_size 296
		.amdhsa_user_sgpr_count 6
		.amdhsa_user_sgpr_private_segment_buffer 1
		.amdhsa_user_sgpr_dispatch_ptr 0
		.amdhsa_user_sgpr_queue_ptr 0
		.amdhsa_user_sgpr_kernarg_segment_ptr 1
		.amdhsa_user_sgpr_dispatch_id 0
		.amdhsa_user_sgpr_flat_scratch_init 0
		.amdhsa_user_sgpr_private_segment_size 0
		.amdhsa_uses_dynamic_stack 0
		.amdhsa_system_sgpr_private_segment_wavefront_offset 0
		.amdhsa_system_sgpr_workgroup_id_x 1
		.amdhsa_system_sgpr_workgroup_id_y 1
		.amdhsa_system_sgpr_workgroup_id_z 1
		.amdhsa_system_sgpr_workgroup_info 0
		.amdhsa_system_vgpr_workitem_id 1
		.amdhsa_next_free_vgpr 6
		.amdhsa_next_free_sgpr 15
		.amdhsa_reserve_vcc 1
		.amdhsa_reserve_flat_scratch 0
		.amdhsa_float_round_mode_32 0
		.amdhsa_float_round_mode_16_64 0
		.amdhsa_float_denorm_mode_32 3
		.amdhsa_float_denorm_mode_16_64 3
		.amdhsa_dx10_clamp 1
		.amdhsa_ieee_mode 1
		.amdhsa_fp16_overflow 0
		.amdhsa_exception_fp_ieee_invalid_op 0
		.amdhsa_exception_fp_denorm_src 0
		.amdhsa_exception_fp_ieee_div_zero 0
		.amdhsa_exception_fp_ieee_overflow 0
		.amdhsa_exception_fp_ieee_underflow 0
		.amdhsa_exception_fp_ieee_inexact 0
		.amdhsa_exception_int_div_zero 0
	.end_amdhsa_kernel
	.section	.text._ZN9rocsolver6v33100L17larft_restore_triI19rocblas_complex_numIfEPKPS3_EEv13rocblas_fill_iT0_iilPT_,"axG",@progbits,_ZN9rocsolver6v33100L17larft_restore_triI19rocblas_complex_numIfEPKPS3_EEv13rocblas_fill_iT0_iilPT_,comdat
.Lfunc_end44:
	.size	_ZN9rocsolver6v33100L17larft_restore_triI19rocblas_complex_numIfEPKPS3_EEv13rocblas_fill_iT0_iilPT_, .Lfunc_end44-_ZN9rocsolver6v33100L17larft_restore_triI19rocblas_complex_numIfEPKPS3_EEv13rocblas_fill_iT0_iilPT_
                                        ; -- End function
	.set _ZN9rocsolver6v33100L17larft_restore_triI19rocblas_complex_numIfEPKPS3_EEv13rocblas_fill_iT0_iilPT_.num_vgpr, 6
	.set _ZN9rocsolver6v33100L17larft_restore_triI19rocblas_complex_numIfEPKPS3_EEv13rocblas_fill_iT0_iilPT_.num_agpr, 0
	.set _ZN9rocsolver6v33100L17larft_restore_triI19rocblas_complex_numIfEPKPS3_EEv13rocblas_fill_iT0_iilPT_.numbered_sgpr, 15
	.set _ZN9rocsolver6v33100L17larft_restore_triI19rocblas_complex_numIfEPKPS3_EEv13rocblas_fill_iT0_iilPT_.num_named_barrier, 0
	.set _ZN9rocsolver6v33100L17larft_restore_triI19rocblas_complex_numIfEPKPS3_EEv13rocblas_fill_iT0_iilPT_.private_seg_size, 0
	.set _ZN9rocsolver6v33100L17larft_restore_triI19rocblas_complex_numIfEPKPS3_EEv13rocblas_fill_iT0_iilPT_.uses_vcc, 1
	.set _ZN9rocsolver6v33100L17larft_restore_triI19rocblas_complex_numIfEPKPS3_EEv13rocblas_fill_iT0_iilPT_.uses_flat_scratch, 0
	.set _ZN9rocsolver6v33100L17larft_restore_triI19rocblas_complex_numIfEPKPS3_EEv13rocblas_fill_iT0_iilPT_.has_dyn_sized_stack, 0
	.set _ZN9rocsolver6v33100L17larft_restore_triI19rocblas_complex_numIfEPKPS3_EEv13rocblas_fill_iT0_iilPT_.has_recursion, 0
	.set _ZN9rocsolver6v33100L17larft_restore_triI19rocblas_complex_numIfEPKPS3_EEv13rocblas_fill_iT0_iilPT_.has_indirect_call, 0
	.section	.AMDGPU.csdata,"",@progbits
; Kernel info:
; codeLenInByte = 324
; TotalNumSgprs: 19
; NumVgprs: 6
; ScratchSize: 0
; MemoryBound: 0
; FloatMode: 240
; IeeeMode: 1
; LDSByteSize: 0 bytes/workgroup (compile time only)
; SGPRBlocks: 2
; VGPRBlocks: 1
; NumSGPRsForWavesPerEU: 19
; NumVGPRsForWavesPerEU: 6
; Occupancy: 10
; WaveLimiterHint : 1
; COMPUTE_PGM_RSRC2:SCRATCH_EN: 0
; COMPUTE_PGM_RSRC2:USER_SGPR: 6
; COMPUTE_PGM_RSRC2:TRAP_HANDLER: 0
; COMPUTE_PGM_RSRC2:TGID_X_EN: 1
; COMPUTE_PGM_RSRC2:TGID_Y_EN: 1
; COMPUTE_PGM_RSRC2:TGID_Z_EN: 1
; COMPUTE_PGM_RSRC2:TIDIG_COMP_CNT: 1
	.section	.text._ZN9rocsolver6v33100L9copymatA1I19rocblas_complex_numIfEPKPS3_EEviiT0_iilPT_,"axG",@progbits,_ZN9rocsolver6v33100L9copymatA1I19rocblas_complex_numIfEPKPS3_EEviiT0_iilPT_,comdat
	.globl	_ZN9rocsolver6v33100L9copymatA1I19rocblas_complex_numIfEPKPS3_EEviiT0_iilPT_ ; -- Begin function _ZN9rocsolver6v33100L9copymatA1I19rocblas_complex_numIfEPKPS3_EEviiT0_iilPT_
	.p2align	8
	.type	_ZN9rocsolver6v33100L9copymatA1I19rocblas_complex_numIfEPKPS3_EEviiT0_iilPT_,@function
_ZN9rocsolver6v33100L9copymatA1I19rocblas_complex_numIfEPKPS3_EEviiT0_iilPT_: ; @_ZN9rocsolver6v33100L9copymatA1I19rocblas_complex_numIfEPKPS3_EEviiT0_iilPT_
; %bb.0:
	s_load_dword s0, s[4:5], 0x34
	s_load_dwordx2 s[2:3], s[4:5], 0x0
	s_waitcnt lgkmcnt(0)
	s_lshr_b32 s1, s0, 16
	s_and_b32 s0, s0, 0xffff
	s_mul_i32 s6, s6, s0
	s_mul_i32 s7, s7, s1
	v_add_u32_e32 v2, s6, v0
	v_add_u32_e32 v0, s7, v1
	v_cmp_gt_u32_e32 vcc, s2, v0
	v_cmp_gt_u32_e64 s[0:1], s3, v2
	s_and_b64 s[0:1], s[0:1], vcc
	s_and_saveexec_b64 s[6:7], s[0:1]
	s_cbranch_execz .LBB45_2
; %bb.1:
	s_load_dwordx4 s[12:15], s[4:5], 0x8
	s_load_dwordx2 s[0:1], s[4:5], 0x20
	s_ashr_i32 s4, s2, 31
	s_mul_hi_u32 s6, s2, s8
	s_mul_i32 s4, s4, s8
	s_ashr_i32 s5, s3, 31
	s_add_i32 s4, s6, s4
	s_mul_i32 s6, s2, s8
	s_mul_i32 s5, s6, s5
	s_mul_hi_u32 s7, s6, s3
	s_add_i32 s5, s7, s5
	s_mul_i32 s4, s4, s3
	s_add_i32 s5, s5, s4
	s_mul_i32 s4, s6, s3
	s_lshl_b64 s[4:5], s[4:5], 3
	s_mov_b32 s9, 0
	s_waitcnt lgkmcnt(0)
	s_add_u32 s3, s0, s4
	s_addc_u32 s10, s1, s5
	s_ashr_i32 s1, s14, 31
	s_lshl_b64 s[4:5], s[8:9], 3
	s_add_u32 s4, s12, s4
	s_addc_u32 s5, s13, s5
	s_load_dwordx2 s[4:5], s[4:5], 0x0
	v_mad_u64_u32 v[3:4], s[6:7], v2, s15, v[0:1]
	s_mov_b32 s0, s14
	s_lshl_b64 s[0:1], s[0:1], 3
	v_mov_b32_e32 v4, 0
	s_waitcnt lgkmcnt(0)
	s_add_u32 s0, s4, s0
	v_lshlrev_b64 v[5:6], 3, v[3:4]
	s_addc_u32 s1, s5, s1
	v_mov_b32_e32 v1, s1
	v_add_co_u32_e32 v5, vcc, s0, v5
	v_addc_co_u32_e32 v6, vcc, v1, v6, vcc
	flat_load_dwordx2 v[5:6], v[5:6]
	v_mad_u64_u32 v[0:1], s[0:1], v2, s2, v[0:1]
	v_mov_b32_e32 v1, v4
	v_mov_b32_e32 v2, s10
	v_lshlrev_b64 v[0:1], 3, v[0:1]
	v_add_co_u32_e32 v0, vcc, s3, v0
	v_addc_co_u32_e32 v1, vcc, v2, v1, vcc
	s_waitcnt vmcnt(0) lgkmcnt(0)
	global_store_dwordx2 v[0:1], v[5:6], off
.LBB45_2:
	s_endpgm
	.section	.rodata,"a",@progbits
	.p2align	6, 0x0
	.amdhsa_kernel _ZN9rocsolver6v33100L9copymatA1I19rocblas_complex_numIfEPKPS3_EEviiT0_iilPT_
		.amdhsa_group_segment_fixed_size 0
		.amdhsa_private_segment_fixed_size 0
		.amdhsa_kernarg_size 296
		.amdhsa_user_sgpr_count 6
		.amdhsa_user_sgpr_private_segment_buffer 1
		.amdhsa_user_sgpr_dispatch_ptr 0
		.amdhsa_user_sgpr_queue_ptr 0
		.amdhsa_user_sgpr_kernarg_segment_ptr 1
		.amdhsa_user_sgpr_dispatch_id 0
		.amdhsa_user_sgpr_flat_scratch_init 0
		.amdhsa_user_sgpr_private_segment_size 0
		.amdhsa_uses_dynamic_stack 0
		.amdhsa_system_sgpr_private_segment_wavefront_offset 0
		.amdhsa_system_sgpr_workgroup_id_x 1
		.amdhsa_system_sgpr_workgroup_id_y 1
		.amdhsa_system_sgpr_workgroup_id_z 1
		.amdhsa_system_sgpr_workgroup_info 0
		.amdhsa_system_vgpr_workitem_id 1
		.amdhsa_next_free_vgpr 7
		.amdhsa_next_free_sgpr 16
		.amdhsa_reserve_vcc 1
		.amdhsa_reserve_flat_scratch 0
		.amdhsa_float_round_mode_32 0
		.amdhsa_float_round_mode_16_64 0
		.amdhsa_float_denorm_mode_32 3
		.amdhsa_float_denorm_mode_16_64 3
		.amdhsa_dx10_clamp 1
		.amdhsa_ieee_mode 1
		.amdhsa_fp16_overflow 0
		.amdhsa_exception_fp_ieee_invalid_op 0
		.amdhsa_exception_fp_denorm_src 0
		.amdhsa_exception_fp_ieee_div_zero 0
		.amdhsa_exception_fp_ieee_overflow 0
		.amdhsa_exception_fp_ieee_underflow 0
		.amdhsa_exception_fp_ieee_inexact 0
		.amdhsa_exception_int_div_zero 0
	.end_amdhsa_kernel
	.section	.text._ZN9rocsolver6v33100L9copymatA1I19rocblas_complex_numIfEPKPS3_EEviiT0_iilPT_,"axG",@progbits,_ZN9rocsolver6v33100L9copymatA1I19rocblas_complex_numIfEPKPS3_EEviiT0_iilPT_,comdat
.Lfunc_end45:
	.size	_ZN9rocsolver6v33100L9copymatA1I19rocblas_complex_numIfEPKPS3_EEviiT0_iilPT_, .Lfunc_end45-_ZN9rocsolver6v33100L9copymatA1I19rocblas_complex_numIfEPKPS3_EEviiT0_iilPT_
                                        ; -- End function
	.set _ZN9rocsolver6v33100L9copymatA1I19rocblas_complex_numIfEPKPS3_EEviiT0_iilPT_.num_vgpr, 7
	.set _ZN9rocsolver6v33100L9copymatA1I19rocblas_complex_numIfEPKPS3_EEviiT0_iilPT_.num_agpr, 0
	.set _ZN9rocsolver6v33100L9copymatA1I19rocblas_complex_numIfEPKPS3_EEviiT0_iilPT_.numbered_sgpr, 16
	.set _ZN9rocsolver6v33100L9copymatA1I19rocblas_complex_numIfEPKPS3_EEviiT0_iilPT_.num_named_barrier, 0
	.set _ZN9rocsolver6v33100L9copymatA1I19rocblas_complex_numIfEPKPS3_EEviiT0_iilPT_.private_seg_size, 0
	.set _ZN9rocsolver6v33100L9copymatA1I19rocblas_complex_numIfEPKPS3_EEviiT0_iilPT_.uses_vcc, 1
	.set _ZN9rocsolver6v33100L9copymatA1I19rocblas_complex_numIfEPKPS3_EEviiT0_iilPT_.uses_flat_scratch, 0
	.set _ZN9rocsolver6v33100L9copymatA1I19rocblas_complex_numIfEPKPS3_EEviiT0_iilPT_.has_dyn_sized_stack, 0
	.set _ZN9rocsolver6v33100L9copymatA1I19rocblas_complex_numIfEPKPS3_EEviiT0_iilPT_.has_recursion, 0
	.set _ZN9rocsolver6v33100L9copymatA1I19rocblas_complex_numIfEPKPS3_EEviiT0_iilPT_.has_indirect_call, 0
	.section	.AMDGPU.csdata,"",@progbits
; Kernel info:
; codeLenInByte = 288
; TotalNumSgprs: 20
; NumVgprs: 7
; ScratchSize: 0
; MemoryBound: 0
; FloatMode: 240
; IeeeMode: 1
; LDSByteSize: 0 bytes/workgroup (compile time only)
; SGPRBlocks: 2
; VGPRBlocks: 1
; NumSGPRsForWavesPerEU: 20
; NumVGPRsForWavesPerEU: 7
; Occupancy: 10
; WaveLimiterHint : 1
; COMPUTE_PGM_RSRC2:SCRATCH_EN: 0
; COMPUTE_PGM_RSRC2:USER_SGPR: 6
; COMPUTE_PGM_RSRC2:TRAP_HANDLER: 0
; COMPUTE_PGM_RSRC2:TGID_X_EN: 1
; COMPUTE_PGM_RSRC2:TGID_Y_EN: 1
; COMPUTE_PGM_RSRC2:TGID_Z_EN: 1
; COMPUTE_PGM_RSRC2:TIDIG_COMP_CNT: 1
	.section	.text._ZN9rocsolver6v33100L8addmatA1I19rocblas_complex_numIfEPKPS3_EEviiT0_iilPT_,"axG",@progbits,_ZN9rocsolver6v33100L8addmatA1I19rocblas_complex_numIfEPKPS3_EEviiT0_iilPT_,comdat
	.globl	_ZN9rocsolver6v33100L8addmatA1I19rocblas_complex_numIfEPKPS3_EEviiT0_iilPT_ ; -- Begin function _ZN9rocsolver6v33100L8addmatA1I19rocblas_complex_numIfEPKPS3_EEviiT0_iilPT_
	.p2align	8
	.type	_ZN9rocsolver6v33100L8addmatA1I19rocblas_complex_numIfEPKPS3_EEviiT0_iilPT_,@function
_ZN9rocsolver6v33100L8addmatA1I19rocblas_complex_numIfEPKPS3_EEviiT0_iilPT_: ; @_ZN9rocsolver6v33100L8addmatA1I19rocblas_complex_numIfEPKPS3_EEviiT0_iilPT_
; %bb.0:
	s_load_dword s0, s[4:5], 0x34
	s_load_dwordx2 s[10:11], s[4:5], 0x0
	s_waitcnt lgkmcnt(0)
	s_lshr_b32 s1, s0, 16
	s_and_b32 s0, s0, 0xffff
	s_mul_i32 s6, s6, s0
	s_mul_i32 s7, s7, s1
	v_add_u32_e32 v2, s6, v0
	v_add_u32_e32 v0, s7, v1
	v_cmp_gt_u32_e32 vcc, s10, v0
	v_cmp_gt_u32_e64 s[0:1], s11, v2
	s_and_b64 s[0:1], s[0:1], vcc
	s_and_saveexec_b64 s[2:3], s[0:1]
	s_cbranch_execz .LBB46_2
; %bb.1:
	s_load_dwordx4 s[0:3], s[4:5], 0x8
	s_load_dwordx2 s[6:7], s[4:5], 0x20
	s_ashr_i32 s4, s10, 31
	s_mul_hi_u32 s12, s10, s8
	s_mul_i32 s4, s4, s8
	s_ashr_i32 s5, s11, 31
	s_add_i32 s4, s12, s4
	s_mul_i32 s12, s10, s8
	s_mul_i32 s5, s12, s5
	s_mul_hi_u32 s13, s12, s11
	s_add_i32 s5, s13, s5
	s_mul_i32 s4, s4, s11
	s_add_i32 s5, s5, s4
	s_mul_i32 s4, s12, s11
	s_lshl_b64 s[4:5], s[4:5], 3
	s_mov_b32 s9, 0
	s_waitcnt lgkmcnt(0)
	s_add_u32 s11, s6, s4
	s_addc_u32 s12, s7, s5
	s_ashr_i32 s5, s2, 31
	s_lshl_b64 s[6:7], s[8:9], 3
	s_add_u32 s0, s0, s6
	s_addc_u32 s1, s1, s7
	s_load_dwordx2 s[0:1], s[0:1], 0x0
	s_mov_b32 s4, s2
	s_lshl_b64 s[4:5], s[4:5], 3
	v_mad_u64_u32 v[3:4], s[6:7], v2, s10, v[0:1]
	s_waitcnt lgkmcnt(0)
	s_add_u32 s2, s0, s4
	s_addc_u32 s4, s1, s5
	v_mad_u64_u32 v[0:1], s[0:1], v2, s3, v[0:1]
	v_mov_b32_e32 v4, 0
	v_lshlrev_b64 v[5:6], 3, v[3:4]
	v_mov_b32_e32 v1, v4
	v_mov_b32_e32 v3, s12
	v_add_co_u32_e32 v2, vcc, s11, v5
	v_lshlrev_b64 v[0:1], 3, v[0:1]
	v_addc_co_u32_e32 v3, vcc, v3, v6, vcc
	v_mov_b32_e32 v4, s4
	v_add_co_u32_e32 v0, vcc, s2, v0
	v_addc_co_u32_e32 v1, vcc, v4, v1, vcc
	global_load_dwordx2 v[4:5], v[2:3], off
	flat_load_dwordx2 v[6:7], v[0:1]
	s_waitcnt vmcnt(0) lgkmcnt(0)
	v_sub_f32_e32 v2, v6, v4
	v_sub_f32_e32 v3, v7, v5
	flat_store_dwordx2 v[0:1], v[2:3]
.LBB46_2:
	s_endpgm
	.section	.rodata,"a",@progbits
	.p2align	6, 0x0
	.amdhsa_kernel _ZN9rocsolver6v33100L8addmatA1I19rocblas_complex_numIfEPKPS3_EEviiT0_iilPT_
		.amdhsa_group_segment_fixed_size 0
		.amdhsa_private_segment_fixed_size 0
		.amdhsa_kernarg_size 296
		.amdhsa_user_sgpr_count 6
		.amdhsa_user_sgpr_private_segment_buffer 1
		.amdhsa_user_sgpr_dispatch_ptr 0
		.amdhsa_user_sgpr_queue_ptr 0
		.amdhsa_user_sgpr_kernarg_segment_ptr 1
		.amdhsa_user_sgpr_dispatch_id 0
		.amdhsa_user_sgpr_flat_scratch_init 0
		.amdhsa_user_sgpr_private_segment_size 0
		.amdhsa_uses_dynamic_stack 0
		.amdhsa_system_sgpr_private_segment_wavefront_offset 0
		.amdhsa_system_sgpr_workgroup_id_x 1
		.amdhsa_system_sgpr_workgroup_id_y 1
		.amdhsa_system_sgpr_workgroup_id_z 1
		.amdhsa_system_sgpr_workgroup_info 0
		.amdhsa_system_vgpr_workitem_id 1
		.amdhsa_next_free_vgpr 8
		.amdhsa_next_free_sgpr 14
		.amdhsa_reserve_vcc 1
		.amdhsa_reserve_flat_scratch 0
		.amdhsa_float_round_mode_32 0
		.amdhsa_float_round_mode_16_64 0
		.amdhsa_float_denorm_mode_32 3
		.amdhsa_float_denorm_mode_16_64 3
		.amdhsa_dx10_clamp 1
		.amdhsa_ieee_mode 1
		.amdhsa_fp16_overflow 0
		.amdhsa_exception_fp_ieee_invalid_op 0
		.amdhsa_exception_fp_denorm_src 0
		.amdhsa_exception_fp_ieee_div_zero 0
		.amdhsa_exception_fp_ieee_overflow 0
		.amdhsa_exception_fp_ieee_underflow 0
		.amdhsa_exception_fp_ieee_inexact 0
		.amdhsa_exception_int_div_zero 0
	.end_amdhsa_kernel
	.section	.text._ZN9rocsolver6v33100L8addmatA1I19rocblas_complex_numIfEPKPS3_EEviiT0_iilPT_,"axG",@progbits,_ZN9rocsolver6v33100L8addmatA1I19rocblas_complex_numIfEPKPS3_EEviiT0_iilPT_,comdat
.Lfunc_end46:
	.size	_ZN9rocsolver6v33100L8addmatA1I19rocblas_complex_numIfEPKPS3_EEviiT0_iilPT_, .Lfunc_end46-_ZN9rocsolver6v33100L8addmatA1I19rocblas_complex_numIfEPKPS3_EEviiT0_iilPT_
                                        ; -- End function
	.set _ZN9rocsolver6v33100L8addmatA1I19rocblas_complex_numIfEPKPS3_EEviiT0_iilPT_.num_vgpr, 8
	.set _ZN9rocsolver6v33100L8addmatA1I19rocblas_complex_numIfEPKPS3_EEviiT0_iilPT_.num_agpr, 0
	.set _ZN9rocsolver6v33100L8addmatA1I19rocblas_complex_numIfEPKPS3_EEviiT0_iilPT_.numbered_sgpr, 14
	.set _ZN9rocsolver6v33100L8addmatA1I19rocblas_complex_numIfEPKPS3_EEviiT0_iilPT_.num_named_barrier, 0
	.set _ZN9rocsolver6v33100L8addmatA1I19rocblas_complex_numIfEPKPS3_EEviiT0_iilPT_.private_seg_size, 0
	.set _ZN9rocsolver6v33100L8addmatA1I19rocblas_complex_numIfEPKPS3_EEviiT0_iilPT_.uses_vcc, 1
	.set _ZN9rocsolver6v33100L8addmatA1I19rocblas_complex_numIfEPKPS3_EEviiT0_iilPT_.uses_flat_scratch, 0
	.set _ZN9rocsolver6v33100L8addmatA1I19rocblas_complex_numIfEPKPS3_EEviiT0_iilPT_.has_dyn_sized_stack, 0
	.set _ZN9rocsolver6v33100L8addmatA1I19rocblas_complex_numIfEPKPS3_EEviiT0_iilPT_.has_recursion, 0
	.set _ZN9rocsolver6v33100L8addmatA1I19rocblas_complex_numIfEPKPS3_EEviiT0_iilPT_.has_indirect_call, 0
	.section	.AMDGPU.csdata,"",@progbits
; Kernel info:
; codeLenInByte = 304
; TotalNumSgprs: 18
; NumVgprs: 8
; ScratchSize: 0
; MemoryBound: 0
; FloatMode: 240
; IeeeMode: 1
; LDSByteSize: 0 bytes/workgroup (compile time only)
; SGPRBlocks: 2
; VGPRBlocks: 1
; NumSGPRsForWavesPerEU: 18
; NumVGPRsForWavesPerEU: 8
; Occupancy: 10
; WaveLimiterHint : 1
; COMPUTE_PGM_RSRC2:SCRATCH_EN: 0
; COMPUTE_PGM_RSRC2:USER_SGPR: 6
; COMPUTE_PGM_RSRC2:TRAP_HANDLER: 0
; COMPUTE_PGM_RSRC2:TGID_X_EN: 1
; COMPUTE_PGM_RSRC2:TGID_Y_EN: 1
; COMPUTE_PGM_RSRC2:TGID_Z_EN: 1
; COMPUTE_PGM_RSRC2:TIDIG_COMP_CNT: 1
	.section	.text._ZN9rocsolver6v33100L18copy_array_to_ptrsI19rocblas_complex_numIfEEEvlPKPT_S5_,"axG",@progbits,_ZN9rocsolver6v33100L18copy_array_to_ptrsI19rocblas_complex_numIfEEEvlPKPT_S5_,comdat
	.globl	_ZN9rocsolver6v33100L18copy_array_to_ptrsI19rocblas_complex_numIfEEEvlPKPT_S5_ ; -- Begin function _ZN9rocsolver6v33100L18copy_array_to_ptrsI19rocblas_complex_numIfEEEvlPKPT_S5_
	.p2align	8
	.type	_ZN9rocsolver6v33100L18copy_array_to_ptrsI19rocblas_complex_numIfEEEvlPKPT_S5_,@function
_ZN9rocsolver6v33100L18copy_array_to_ptrsI19rocblas_complex_numIfEEEvlPKPT_S5_: ; @_ZN9rocsolver6v33100L18copy_array_to_ptrsI19rocblas_complex_numIfEEEvlPKPT_S5_
; %bb.0:
	s_mov_b32 s8, s7
	s_load_dword s7, s[4:5], 0x24
	s_load_dwordx4 s[0:3], s[4:5], 0x0
	s_waitcnt lgkmcnt(0)
	s_and_b32 s7, s7, 0xffff
	s_mul_i32 s6, s6, s7
	v_add_u32_e32 v0, s6, v0
	v_ashrrev_i32_e32 v1, 31, v0
	v_cmp_gt_i64_e32 vcc, s[0:1], v[0:1]
	s_and_saveexec_b64 s[6:7], vcc
	s_cbranch_execz .LBB47_2
; %bb.1:
	s_load_dwordx2 s[4:5], s[4:5], 0x10
	s_ashr_i32 s9, s8, 31
	s_mul_hi_u32 s6, s0, s8
	s_mul_i32 s7, s0, s9
	s_add_i32 s6, s6, s7
	s_mul_i32 s1, s1, s8
	s_add_i32 s1, s6, s1
	s_mul_i32 s0, s0, s8
	s_lshl_b64 s[0:1], s[0:1], 3
	s_waitcnt lgkmcnt(0)
	s_add_u32 s0, s4, s0
	v_lshlrev_b64 v[0:1], 3, v[0:1]
	s_addc_u32 s1, s5, s1
	v_mov_b32_e32 v3, s1
	v_add_co_u32_e32 v2, vcc, s0, v0
	v_addc_co_u32_e32 v3, vcc, v3, v1, vcc
	global_load_dwordx2 v[2:3], v[2:3], off
	s_lshl_b64 s[0:1], s[8:9], 3
	s_add_u32 s0, s2, s0
	s_addc_u32 s1, s3, s1
	s_load_dwordx2 s[0:1], s[0:1], 0x0
	s_waitcnt lgkmcnt(0)
	v_mov_b32_e32 v4, s1
	v_add_co_u32_e32 v0, vcc, s0, v0
	v_addc_co_u32_e32 v1, vcc, v4, v1, vcc
	s_waitcnt vmcnt(0)
	flat_store_dwordx2 v[0:1], v[2:3]
.LBB47_2:
	s_endpgm
	.section	.rodata,"a",@progbits
	.p2align	6, 0x0
	.amdhsa_kernel _ZN9rocsolver6v33100L18copy_array_to_ptrsI19rocblas_complex_numIfEEEvlPKPT_S5_
		.amdhsa_group_segment_fixed_size 0
		.amdhsa_private_segment_fixed_size 0
		.amdhsa_kernarg_size 280
		.amdhsa_user_sgpr_count 6
		.amdhsa_user_sgpr_private_segment_buffer 1
		.amdhsa_user_sgpr_dispatch_ptr 0
		.amdhsa_user_sgpr_queue_ptr 0
		.amdhsa_user_sgpr_kernarg_segment_ptr 1
		.amdhsa_user_sgpr_dispatch_id 0
		.amdhsa_user_sgpr_flat_scratch_init 0
		.amdhsa_user_sgpr_private_segment_size 0
		.amdhsa_uses_dynamic_stack 0
		.amdhsa_system_sgpr_private_segment_wavefront_offset 0
		.amdhsa_system_sgpr_workgroup_id_x 1
		.amdhsa_system_sgpr_workgroup_id_y 1
		.amdhsa_system_sgpr_workgroup_id_z 0
		.amdhsa_system_sgpr_workgroup_info 0
		.amdhsa_system_vgpr_workitem_id 0
		.amdhsa_next_free_vgpr 5
		.amdhsa_next_free_sgpr 10
		.amdhsa_reserve_vcc 1
		.amdhsa_reserve_flat_scratch 0
		.amdhsa_float_round_mode_32 0
		.amdhsa_float_round_mode_16_64 0
		.amdhsa_float_denorm_mode_32 3
		.amdhsa_float_denorm_mode_16_64 3
		.amdhsa_dx10_clamp 1
		.amdhsa_ieee_mode 1
		.amdhsa_fp16_overflow 0
		.amdhsa_exception_fp_ieee_invalid_op 0
		.amdhsa_exception_fp_denorm_src 0
		.amdhsa_exception_fp_ieee_div_zero 0
		.amdhsa_exception_fp_ieee_overflow 0
		.amdhsa_exception_fp_ieee_underflow 0
		.amdhsa_exception_fp_ieee_inexact 0
		.amdhsa_exception_int_div_zero 0
	.end_amdhsa_kernel
	.section	.text._ZN9rocsolver6v33100L18copy_array_to_ptrsI19rocblas_complex_numIfEEEvlPKPT_S5_,"axG",@progbits,_ZN9rocsolver6v33100L18copy_array_to_ptrsI19rocblas_complex_numIfEEEvlPKPT_S5_,comdat
.Lfunc_end47:
	.size	_ZN9rocsolver6v33100L18copy_array_to_ptrsI19rocblas_complex_numIfEEEvlPKPT_S5_, .Lfunc_end47-_ZN9rocsolver6v33100L18copy_array_to_ptrsI19rocblas_complex_numIfEEEvlPKPT_S5_
                                        ; -- End function
	.set _ZN9rocsolver6v33100L18copy_array_to_ptrsI19rocblas_complex_numIfEEEvlPKPT_S5_.num_vgpr, 5
	.set _ZN9rocsolver6v33100L18copy_array_to_ptrsI19rocblas_complex_numIfEEEvlPKPT_S5_.num_agpr, 0
	.set _ZN9rocsolver6v33100L18copy_array_to_ptrsI19rocblas_complex_numIfEEEvlPKPT_S5_.numbered_sgpr, 10
	.set _ZN9rocsolver6v33100L18copy_array_to_ptrsI19rocblas_complex_numIfEEEvlPKPT_S5_.num_named_barrier, 0
	.set _ZN9rocsolver6v33100L18copy_array_to_ptrsI19rocblas_complex_numIfEEEvlPKPT_S5_.private_seg_size, 0
	.set _ZN9rocsolver6v33100L18copy_array_to_ptrsI19rocblas_complex_numIfEEEvlPKPT_S5_.uses_vcc, 1
	.set _ZN9rocsolver6v33100L18copy_array_to_ptrsI19rocblas_complex_numIfEEEvlPKPT_S5_.uses_flat_scratch, 0
	.set _ZN9rocsolver6v33100L18copy_array_to_ptrsI19rocblas_complex_numIfEEEvlPKPT_S5_.has_dyn_sized_stack, 0
	.set _ZN9rocsolver6v33100L18copy_array_to_ptrsI19rocblas_complex_numIfEEEvlPKPT_S5_.has_recursion, 0
	.set _ZN9rocsolver6v33100L18copy_array_to_ptrsI19rocblas_complex_numIfEEEvlPKPT_S5_.has_indirect_call, 0
	.section	.AMDGPU.csdata,"",@progbits
; Kernel info:
; codeLenInByte = 188
; TotalNumSgprs: 14
; NumVgprs: 5
; ScratchSize: 0
; MemoryBound: 0
; FloatMode: 240
; IeeeMode: 1
; LDSByteSize: 0 bytes/workgroup (compile time only)
; SGPRBlocks: 1
; VGPRBlocks: 1
; NumSGPRsForWavesPerEU: 14
; NumVGPRsForWavesPerEU: 5
; Occupancy: 10
; WaveLimiterHint : 1
; COMPUTE_PGM_RSRC2:SCRATCH_EN: 0
; COMPUTE_PGM_RSRC2:USER_SGPR: 6
; COMPUTE_PGM_RSRC2:TRAP_HANDLER: 0
; COMPUTE_PGM_RSRC2:TGID_X_EN: 1
; COMPUTE_PGM_RSRC2:TGID_Y_EN: 1
; COMPUTE_PGM_RSRC2:TGID_Z_EN: 0
; COMPUTE_PGM_RSRC2:TIDIG_COMP_CNT: 0
	.section	.text._ZN9rocsolver6v33100L6iota_nI19rocblas_complex_numIdEEEvPT_jS4_,"axG",@progbits,_ZN9rocsolver6v33100L6iota_nI19rocblas_complex_numIdEEEvPT_jS4_,comdat
	.globl	_ZN9rocsolver6v33100L6iota_nI19rocblas_complex_numIdEEEvPT_jS4_ ; -- Begin function _ZN9rocsolver6v33100L6iota_nI19rocblas_complex_numIdEEEvPT_jS4_
	.p2align	8
	.type	_ZN9rocsolver6v33100L6iota_nI19rocblas_complex_numIdEEEvPT_jS4_,@function
_ZN9rocsolver6v33100L6iota_nI19rocblas_complex_numIdEEEvPT_jS4_: ; @_ZN9rocsolver6v33100L6iota_nI19rocblas_complex_numIdEEEvPT_jS4_
; %bb.0:
	s_load_dword s0, s[4:5], 0x8
	s_waitcnt lgkmcnt(0)
	v_cmp_gt_u32_e32 vcc, s0, v0
	s_and_saveexec_b64 s[0:1], vcc
	s_cbranch_execz .LBB48_2
; %bb.1:
	s_load_dwordx4 s[0:3], s[4:5], 0x10
	v_cvt_f64_u32_e32 v[1:2], v0
	v_lshlrev_b32_e32 v0, 4, v0
	s_waitcnt lgkmcnt(0)
	v_add_f64 v[1:2], s[0:1], v[1:2]
	v_add_f64 v[3:4], s[2:3], 0
	s_load_dwordx2 s[0:1], s[4:5], 0x0
	s_waitcnt lgkmcnt(0)
	global_store_dwordx4 v0, v[1:4], s[0:1]
.LBB48_2:
	s_endpgm
	.section	.rodata,"a",@progbits
	.p2align	6, 0x0
	.amdhsa_kernel _ZN9rocsolver6v33100L6iota_nI19rocblas_complex_numIdEEEvPT_jS4_
		.amdhsa_group_segment_fixed_size 0
		.amdhsa_private_segment_fixed_size 0
		.amdhsa_kernarg_size 32
		.amdhsa_user_sgpr_count 6
		.amdhsa_user_sgpr_private_segment_buffer 1
		.amdhsa_user_sgpr_dispatch_ptr 0
		.amdhsa_user_sgpr_queue_ptr 0
		.amdhsa_user_sgpr_kernarg_segment_ptr 1
		.amdhsa_user_sgpr_dispatch_id 0
		.amdhsa_user_sgpr_flat_scratch_init 0
		.amdhsa_user_sgpr_private_segment_size 0
		.amdhsa_uses_dynamic_stack 0
		.amdhsa_system_sgpr_private_segment_wavefront_offset 0
		.amdhsa_system_sgpr_workgroup_id_x 1
		.amdhsa_system_sgpr_workgroup_id_y 0
		.amdhsa_system_sgpr_workgroup_id_z 0
		.amdhsa_system_sgpr_workgroup_info 0
		.amdhsa_system_vgpr_workitem_id 0
		.amdhsa_next_free_vgpr 5
		.amdhsa_next_free_sgpr 6
		.amdhsa_reserve_vcc 1
		.amdhsa_reserve_flat_scratch 0
		.amdhsa_float_round_mode_32 0
		.amdhsa_float_round_mode_16_64 0
		.amdhsa_float_denorm_mode_32 3
		.amdhsa_float_denorm_mode_16_64 3
		.amdhsa_dx10_clamp 1
		.amdhsa_ieee_mode 1
		.amdhsa_fp16_overflow 0
		.amdhsa_exception_fp_ieee_invalid_op 0
		.amdhsa_exception_fp_denorm_src 0
		.amdhsa_exception_fp_ieee_div_zero 0
		.amdhsa_exception_fp_ieee_overflow 0
		.amdhsa_exception_fp_ieee_underflow 0
		.amdhsa_exception_fp_ieee_inexact 0
		.amdhsa_exception_int_div_zero 0
	.end_amdhsa_kernel
	.section	.text._ZN9rocsolver6v33100L6iota_nI19rocblas_complex_numIdEEEvPT_jS4_,"axG",@progbits,_ZN9rocsolver6v33100L6iota_nI19rocblas_complex_numIdEEEvPT_jS4_,comdat
.Lfunc_end48:
	.size	_ZN9rocsolver6v33100L6iota_nI19rocblas_complex_numIdEEEvPT_jS4_, .Lfunc_end48-_ZN9rocsolver6v33100L6iota_nI19rocblas_complex_numIdEEEvPT_jS4_
                                        ; -- End function
	.set _ZN9rocsolver6v33100L6iota_nI19rocblas_complex_numIdEEEvPT_jS4_.num_vgpr, 5
	.set _ZN9rocsolver6v33100L6iota_nI19rocblas_complex_numIdEEEvPT_jS4_.num_agpr, 0
	.set _ZN9rocsolver6v33100L6iota_nI19rocblas_complex_numIdEEEvPT_jS4_.numbered_sgpr, 6
	.set _ZN9rocsolver6v33100L6iota_nI19rocblas_complex_numIdEEEvPT_jS4_.num_named_barrier, 0
	.set _ZN9rocsolver6v33100L6iota_nI19rocblas_complex_numIdEEEvPT_jS4_.private_seg_size, 0
	.set _ZN9rocsolver6v33100L6iota_nI19rocblas_complex_numIdEEEvPT_jS4_.uses_vcc, 1
	.set _ZN9rocsolver6v33100L6iota_nI19rocblas_complex_numIdEEEvPT_jS4_.uses_flat_scratch, 0
	.set _ZN9rocsolver6v33100L6iota_nI19rocblas_complex_numIdEEEvPT_jS4_.has_dyn_sized_stack, 0
	.set _ZN9rocsolver6v33100L6iota_nI19rocblas_complex_numIdEEEvPT_jS4_.has_recursion, 0
	.set _ZN9rocsolver6v33100L6iota_nI19rocblas_complex_numIdEEEvPT_jS4_.has_indirect_call, 0
	.section	.AMDGPU.csdata,"",@progbits
; Kernel info:
; codeLenInByte = 84
; TotalNumSgprs: 10
; NumVgprs: 5
; ScratchSize: 0
; MemoryBound: 0
; FloatMode: 240
; IeeeMode: 1
; LDSByteSize: 0 bytes/workgroup (compile time only)
; SGPRBlocks: 1
; VGPRBlocks: 1
; NumSGPRsForWavesPerEU: 10
; NumVGPRsForWavesPerEU: 5
; Occupancy: 10
; WaveLimiterHint : 0
; COMPUTE_PGM_RSRC2:SCRATCH_EN: 0
; COMPUTE_PGM_RSRC2:USER_SGPR: 6
; COMPUTE_PGM_RSRC2:TRAP_HANDLER: 0
; COMPUTE_PGM_RSRC2:TGID_X_EN: 1
; COMPUTE_PGM_RSRC2:TGID_Y_EN: 0
; COMPUTE_PGM_RSRC2:TGID_Z_EN: 0
; COMPUTE_PGM_RSRC2:TIDIG_COMP_CNT: 0
	.section	.text._ZN9rocsolver6v33100L18geqr2_kernel_smallILi256E19rocblas_complex_numIdEidPKPS3_EEvT1_S7_T3_lS7_lPT2_lPT0_l,"axG",@progbits,_ZN9rocsolver6v33100L18geqr2_kernel_smallILi256E19rocblas_complex_numIdEidPKPS3_EEvT1_S7_T3_lS7_lPT2_lPT0_l,comdat
	.globl	_ZN9rocsolver6v33100L18geqr2_kernel_smallILi256E19rocblas_complex_numIdEidPKPS3_EEvT1_S7_T3_lS7_lPT2_lPT0_l ; -- Begin function _ZN9rocsolver6v33100L18geqr2_kernel_smallILi256E19rocblas_complex_numIdEidPKPS3_EEvT1_S7_T3_lS7_lPT2_lPT0_l
	.p2align	8
	.type	_ZN9rocsolver6v33100L18geqr2_kernel_smallILi256E19rocblas_complex_numIdEidPKPS3_EEvT1_S7_T3_lS7_lPT2_lPT0_l,@function
_ZN9rocsolver6v33100L18geqr2_kernel_smallILi256E19rocblas_complex_numIdEidPKPS3_EEvT1_S7_T3_lS7_lPT2_lPT0_l: ; @_ZN9rocsolver6v33100L18geqr2_kernel_smallILi256E19rocblas_complex_numIdEidPKPS3_EEvT1_S7_T3_lS7_lPT2_lPT0_l
; %bb.0:
	s_load_dwordx4 s[0:3], s[4:5], 0x8
	s_mov_b32 s6, s7
	s_ashr_i32 s7, s7, 31
	s_lshl_b64 s[8:9], s[6:7], 3
	v_and_b32_e32 v1, 0x7f, v0
	s_waitcnt lgkmcnt(0)
	s_add_u32 s0, s0, s8
	s_addc_u32 s1, s1, s9
	s_load_dwordx2 s[8:9], s[0:1], 0x0
	s_load_dwordx2 s[16:17], s[4:5], 0x0
	s_load_dword s33, s[4:5], 0x18
	s_lshl_b64 s[0:1], s[2:3], 4
	v_lshrrev_b32_e32 v16, 7, v0
	s_waitcnt lgkmcnt(0)
	s_add_u32 s30, s8, s0
	s_addc_u32 s31, s9, s1
	v_cmp_gt_i32_e64 s[0:1], s16, v1
	v_lshlrev_b32_e32 v17, 4, v1
	s_and_saveexec_b64 s[8:9], s[0:1]
	s_cbranch_execz .LBB49_6
; %bb.1:
	v_lshrrev_b32_e32 v5, 7, v0
	v_mul_lo_u32 v2, s16, v5
	s_lshl_b32 s18, s16, 5
	v_cmp_gt_i32_e32 vcc, s17, v5
	s_lshl_b32 s19, s33, 1
	v_lshlrev_b32_e32 v2, 4, v2
	v_add3_u32 v6, v2, v17, 0
	v_mad_u64_u32 v[2:3], s[2:3], s33, v5, v[1:2]
	s_mov_b64 s[10:11], 0
	v_mov_b32_e32 v7, v1
	s_branch .LBB49_3
.LBB49_2:                               ;   in Loop: Header=BB49_3 Depth=1
	s_or_b64 exec, exec, s[12:13]
	v_add_u32_e32 v7, 0x80, v7
	v_cmp_le_i32_e64 s[2:3], s16, v7
	v_add_u32_e32 v6, 0x800, v6
	s_or_b64 s[10:11], s[2:3], s[10:11]
	v_add_u32_e32 v2, 0x80, v2
	s_andn2_b64 exec, exec, s[10:11]
	s_cbranch_execz .LBB49_6
.LBB49_3:                               ; =>This Loop Header: Depth=1
                                        ;     Child Loop BB49_5 Depth 2
	s_and_saveexec_b64 s[12:13], vcc
	s_cbranch_execz .LBB49_2
; %bb.4:                                ;   in Loop: Header=BB49_3 Depth=1
	s_mov_b64 s[14:15], 0
	v_mov_b32_e32 v3, v2
	v_mov_b32_e32 v8, v6
	;; [unrolled: 1-line block ×3, first 2 shown]
.LBB49_5:                               ;   Parent Loop BB49_3 Depth=1
                                        ; =>  This Inner Loop Header: Depth=2
	v_ashrrev_i32_e32 v4, 31, v3
	v_lshlrev_b64 v[10:11], 4, v[3:4]
	v_mov_b32_e32 v12, s31
	v_add_co_u32_e64 v10, s[2:3], s30, v10
	v_addc_co_u32_e64 v11, s[2:3], v12, v11, s[2:3]
	flat_load_dwordx4 v[10:13], v[10:11]
	v_add_u32_e32 v9, 2, v9
	v_cmp_le_i32_e64 s[2:3], s17, v9
	v_add_u32_e32 v3, s19, v3
	s_or_b64 s[14:15], s[2:3], s[14:15]
	s_waitcnt vmcnt(0) lgkmcnt(0)
	ds_write2_b64 v8, v[10:11], v[12:13] offset1:1
	v_add_u32_e32 v8, s18, v8
	s_andn2_b64 exec, exec, s[14:15]
	s_cbranch_execnz .LBB49_5
	s_branch .LBB49_2
.LBB49_6:
	s_or_b64 exec, exec, s[8:9]
	s_min_i32 s34, s17, s16
	s_cmp_lt_i32 s34, 1
	s_waitcnt lgkmcnt(0)
	s_barrier
	s_cbranch_scc1 .LBB49_44
; %bb.7:
	s_load_dwordx8 s[8:15], s[4:5], 0x28
	v_mbcnt_lo_u32_b32 v2, -1, 0
	v_mbcnt_hi_u32_b32 v2, -1, v2
	v_and_b32_e32 v3, 63, v2
	v_cmp_ne_u32_e32 vcc, 63, v3
	s_waitcnt lgkmcnt(0)
	s_mul_i32 s3, s10, s7
	s_mul_hi_u32 s4, s10, s6
	s_mul_i32 s5, s11, s6
	s_add_i32 s3, s4, s3
	s_mul_i32 s2, s10, s6
	s_add_i32 s3, s3, s5
	s_lshl_b64 s[2:3], s[2:3], 3
	s_mul_i32 s7, s14, s7
	s_add_u32 s35, s8, s2
	s_mul_hi_u32 s2, s14, s6
	s_addc_u32 s36, s9, s3
	s_add_i32 s2, s2, s7
	s_mul_i32 s3, s15, s6
	s_add_i32 s3, s2, s3
	s_mul_i32 s2, s14, s6
	v_addc_co_u32_e32 v4, vcc, 0, v2, vcc
	s_lshl_b64 s[2:3], s[2:3], 4
	v_cmp_gt_u32_e32 vcc, 62, v3
	s_add_u32 s37, s12, s2
	s_mul_i32 s2, s17, s16
	v_lshlrev_b32_e32 v18, 2, v4
	v_cndmask_b32_e64 v4, 0, 2, vcc
	v_cmp_gt_u32_e32 vcc, 60, v3
	s_addc_u32 s38, s13, s3
	s_lshl_b32 s2, s2, 4
	v_add_lshl_u32 v19, v4, v2, 2
	v_cndmask_b32_e64 v4, 0, 4, vcc
	v_cmp_gt_u32_e32 vcc, 56, v3
	s_add_i32 s39, s2, 0
	s_lshl_b32 s2, s17, 4
	v_add_lshl_u32 v20, v4, v2, 2
	v_cndmask_b32_e64 v4, 0, 8, vcc
	s_add_i32 s40, s39, s2
	v_add_lshl_u32 v21, v4, v2, 2
	v_cmp_gt_u32_e32 vcc, 48, v3
	v_mul_lo_u32 v4, s16, v0
	v_cndmask_b32_e64 v3, 0, 16, vcc
	s_cmp_eq_u64 s[8:9], 0
	v_add_lshl_u32 v22, v3, v2, 2
	v_mov_b32_e32 v3, 0x80
	s_cselect_b64 s[18:19], -1, 0
	s_cmp_lg_u64 s[8:9], 0
	v_lshl_or_b32 v23, v2, 2, v3
	v_and_b32_e32 v2, 63, v0
	s_cselect_b64 s[20:21], -1, 0
	s_lshl_b32 s41, s16, 4
	s_mov_b32 s15, 0
	v_cmp_eq_u32_e64 s[2:3], 0, v2
	v_lshrrev_b32_e32 v2, 2, v0
	v_lshlrev_b32_e32 v3, 4, v0
	v_add_u32_e32 v4, s16, v4
	s_add_i32 s6, s41, 0
	s_mov_b32 s22, 0
	v_cmp_eq_u32_e64 s[4:5], 0, v0
	v_add3_u32 v24, v3, 0, 16
	s_add_i32 s42, s41, 16
	v_lshl_add_u32 v25, v4, 4, 0
	s_lshl_b32 s43, s16, 12
	v_add_u32_e32 v26, s6, v3
	v_add_u32_e32 v27, s40, v2
	s_brev_b32 s23, 8
	v_mov_b32_e32 v28, 0x260
	v_mov_b32_e32 v2, 0
	;; [unrolled: 1-line block ×4, first 2 shown]
	s_mov_b32 s44, 0
	s_mov_b32 s45, s17
	;; [unrolled: 1-line block ×4, first 2 shown]
	s_branch .LBB49_9
.LBB49_8:                               ;   in Loop: Header=BB49_9 Depth=1
	s_or_b64 exec, exec, s[6:7]
	s_add_i32 s45, s45, -1
	s_add_i32 s14, s14, 1
	s_add_i32 s46, s46, -1
	s_add_i32 s44, s44, s42
	v_add_u32_e32 v24, s42, v24
	v_add_u32_e32 v25, s42, v25
	s_cmp_eq_u32 s14, s34
	v_add_u32_e32 v26, s42, v26
	s_waitcnt lgkmcnt(0)
	s_barrier
	s_cbranch_scc1 .LBB49_44
.LBB49_9:                               ; =>This Loop Header: Depth=1
                                        ;     Child Loop BB49_11 Depth 2
                                        ;     Child Loop BB49_30 Depth 2
	;; [unrolled: 1-line block ×3, first 2 shown]
                                        ;       Child Loop BB49_37 Depth 3
                                        ;     Child Loop BB49_41 Depth 2
                                        ;       Child Loop BB49_43 Depth 3
	s_sub_i32 s47, s16, s14
	s_add_i32 s49, s47, -1
	v_mov_b32_e32 v3, 0
	v_mov_b32_e32 v5, 0
	;; [unrolled: 1-line block ×4, first 2 shown]
	v_cmp_gt_i32_e64 s[6:7], s49, v0
	s_and_saveexec_b64 s[8:9], s[6:7]
	s_cbranch_execz .LBB49_13
; %bb.10:                               ;   in Loop: Header=BB49_9 Depth=1
	v_mov_b32_e32 v3, 0
	v_mov_b32_e32 v5, 0
	;; [unrolled: 1-line block ×3, first 2 shown]
	s_mov_b64 s[10:11], 0
	v_mov_b32_e32 v7, v24
	v_mov_b32_e32 v6, 0
	;; [unrolled: 1-line block ×3, first 2 shown]
.LBB49_11:                              ;   Parent Loop BB49_9 Depth=1
                                        ; =>  This Inner Loop Header: Depth=2
	ds_read2_b64 v[9:12], v7 offset1:1
	v_add_u32_e32 v8, 0x100, v8
	v_cmp_le_i32_e32 vcc, s49, v8
	s_or_b64 s[10:11], vcc, s[10:11]
	v_add_u32_e32 v7, 0x1000, v7
	s_waitcnt lgkmcnt(0)
	v_mul_f64 v[13:14], v[11:12], v[11:12]
	v_mul_f64 v[31:32], v[9:10], v[11:12]
	v_fma_f64 v[13:14], v[9:10], v[9:10], v[13:14]
	v_fma_f64 v[9:10], v[9:10], v[11:12], -v[31:32]
	v_add_f64 v[5:6], v[5:6], v[13:14]
	v_add_f64 v[3:4], v[3:4], v[9:10]
	s_andn2_b64 exec, exec, s[10:11]
	s_cbranch_execnz .LBB49_11
; %bb.12:                               ;   in Loop: Header=BB49_9 Depth=1
	s_or_b64 exec, exec, s[10:11]
.LBB49_13:                              ;   in Loop: Header=BB49_9 Depth=1
	s_or_b64 exec, exec, s[8:9]
	ds_bpermute_b32 v7, v18, v5
	ds_bpermute_b32 v8, v18, v6
	s_waitcnt lgkmcnt(0)
	v_add_f64 v[5:6], v[5:6], v[7:8]
	ds_bpermute_b32 v7, v18, v3
	ds_bpermute_b32 v8, v18, v4
	s_waitcnt lgkmcnt(0)
	v_add_f64 v[3:4], v[3:4], v[7:8]
	;; [unrolled: 4-line block ×11, first 2 shown]
	ds_bpermute_b32 v7, v23, v5
	ds_bpermute_b32 v8, v23, v6
	s_and_saveexec_b64 s[8:9], s[2:3]
	s_cbranch_execz .LBB49_15
; %bb.14:                               ;   in Loop: Header=BB49_9 Depth=1
	s_waitcnt lgkmcnt(0)
	v_add_f64 v[5:6], v[5:6], v[7:8]
	ds_write2_b64 v27, v[3:4], v[5:6] offset0:2 offset1:3
.LBB49_15:                              ;   in Loop: Header=BB49_9 Depth=1
	s_or_b64 exec, exec, s[8:9]
	s_lshl_b32 s8, s14, 4
	s_add_i32 s48, s8, 0
	s_mul_i32 s8, s14, s16
	s_lshl_b32 s8, s8, 4
	s_add_i32 s48, s48, s8
	s_waitcnt lgkmcnt(0)
	s_barrier
	s_and_saveexec_b64 s[24:25], s[4:5]
	s_cbranch_execz .LBB49_28
; %bb.16:                               ;   in Loop: Header=BB49_9 Depth=1
	v_mov_b32_e32 v9, s40
	ds_read2_b64 v[5:8], v9 offset0:4 offset1:6
	s_mov_b64 s[8:9], 0
	s_mov_b64 s[26:27], 0
	s_waitcnt lgkmcnt(0)
	v_add_f64 v[3:4], v[3:4], v[5:6]
	v_mov_b32_e32 v5, s48
	v_add_f64 v[3:4], v[3:4], v[7:8]
	ds_read_b64 v[8:9], v9 offset:64
	ds_read_b64 v[6:7], v5 offset:8
	s_waitcnt lgkmcnt(0)
	v_mul_f64 v[12:13], v[6:7], v[6:7]
	v_add_f64 v[14:15], v[3:4], v[8:9]
	v_max_f64 v[3:4], v[14:15], v[12:13]
	v_cmp_nlt_f64_e32 vcc, 0, v[3:4]
	s_and_saveexec_b64 s[10:11], vcc
	s_xor_b64 s[10:11], exec, s[10:11]
                                        ; implicit-def: $vgpr4_vgpr5
	s_cbranch_execz .LBB49_21
; %bb.17:                               ;   in Loop: Header=BB49_9 Depth=1
	s_mov_b32 s12, s15
	s_mov_b32 s26, s15
	;; [unrolled: 1-line block ×4, first 2 shown]
	v_mov_b32_e32 v3, s12
	v_mov_b32_e32 v5, s26
	;; [unrolled: 1-line block ×5, first 2 shown]
	s_and_b64 vcc, exec, s[20:21]
	ds_write2_b64 v7, v[3:4], v[5:6] offset1:1
	s_cbranch_vccz .LBB49_19
; %bb.18:                               ;   in Loop: Header=BB49_9 Depth=1
	v_mov_b32_e32 v3, s48
	ds_read_b64 v[4:5], v3
	s_mov_b64 s[12:13], -1
	s_branch .LBB49_20
.LBB49_19:                              ;   in Loop: Header=BB49_9 Depth=1
	s_mov_b64 s[12:13], 0
                                        ; implicit-def: $vgpr4_vgpr5
.LBB49_20:                              ;   in Loop: Header=BB49_9 Depth=1
	s_and_b64 s[26:27], s[12:13], exec
                                        ; implicit-def: $vgpr12_vgpr13
                                        ; implicit-def: $vgpr14_vgpr15
                                        ; implicit-def: $vgpr6_vgpr7
.LBB49_21:                              ;   in Loop: Header=BB49_9 Depth=1
	s_or_saveexec_b64 s[28:29], s[10:11]
	v_mov_b32_e32 v8, 0
	v_mov_b32_e32 v10, 0
	;; [unrolled: 1-line block ×4, first 2 shown]
	s_xor_b64 exec, exec, s[28:29]
	s_cbranch_execz .LBB49_23
; %bb.22:                               ;   in Loop: Header=BB49_9 Depth=1
	v_mov_b32_e32 v3, s48
	ds_read_b64 v[8:9], v3
	s_waitcnt lgkmcnt(0)
	v_fma_f64 v[3:4], v[8:9], v[8:9], v[12:13]
	v_add_f64 v[3:4], v[14:15], v[3:4]
	v_cmp_gt_f64_e32 vcc, s[22:23], v[3:4]
	v_cndmask_b32_e32 v5, 0, v29, vcc
	v_ldexp_f64 v[4:5], v[3:4], v5
	v_cndmask_b32_e32 v3, 0, v30, vcc
	v_rsq_f64_e32 v[10:11], v[4:5]
	v_cmp_class_f64_e32 vcc, v[4:5], v28
	v_mul_f64 v[14:15], v[4:5], v[10:11]
	v_mul_f64 v[10:11], v[10:11], 0.5
	v_fma_f64 v[31:32], -v[10:11], v[14:15], 0.5
	v_fma_f64 v[14:15], v[14:15], v[31:32], v[14:15]
	v_fma_f64 v[10:11], v[10:11], v[31:32], v[10:11]
	v_fma_f64 v[31:32], -v[14:15], v[14:15], v[4:5]
	v_fma_f64 v[14:15], v[31:32], v[10:11], v[14:15]
	v_fma_f64 v[31:32], -v[14:15], v[14:15], v[4:5]
	v_fma_f64 v[10:11], v[31:32], v[10:11], v[14:15]
	v_ldexp_f64 v[10:11], v[10:11], v3
	v_cndmask_b32_e32 v4, v10, v4, vcc
	v_cndmask_b32_e32 v3, v11, v5, vcc
	v_cmp_le_f64_e32 vcc, 0, v[8:9]
	v_xor_b32_e32 v5, 0x80000000, v3
	v_cndmask_b32_e32 v5, v3, v5, vcc
	v_add_f64 v[10:11], v[8:9], -v[4:5]
	v_add_f64 v[8:9], v[4:5], -v[8:9]
	v_div_scale_f64 v[35:36], s[8:9], v[4:5], v[4:5], -v[6:7]
	v_mov_b32_e32 v3, s40
	v_fma_f64 v[12:13], v[10:11], v[10:11], v[12:13]
	v_div_scale_f64 v[33:34], s[8:9], v[4:5], v[4:5], v[8:9]
	v_div_scale_f64 v[55:56], s[12:13], v[8:9], v[4:5], v[8:9]
	;; [unrolled: 1-line block ×3, first 2 shown]
	v_div_scale_f64 v[31:32], s[8:9], v[12:13], v[12:13], -v[6:7]
	v_rcp_f64_e32 v[43:44], v[35:36]
	v_div_scale_f64 v[51:52], s[8:9], -v[6:7], v[4:5], -v[6:7]
	v_rcp_f64_e32 v[41:42], v[33:34]
	v_rcp_f64_e32 v[37:38], v[14:15]
	;; [unrolled: 1-line block ×3, first 2 shown]
	v_fma_f64 v[49:50], -v[33:34], v[41:42], 1.0
	v_fma_f64 v[45:46], -v[14:15], v[37:38], 1.0
	v_fma_f64 v[41:42], v[41:42], v[49:50], v[41:42]
	v_fma_f64 v[47:48], -v[31:32], v[39:40], 1.0
	v_fma_f64 v[37:38], v[37:38], v[45:46], v[37:38]
	;; [unrolled: 2-line block ×3, first 2 shown]
	v_div_scale_f64 v[47:48], vcc, v[10:11], v[12:13], v[10:11]
	v_fma_f64 v[57:58], -v[33:34], v[41:42], 1.0
	v_fma_f64 v[49:50], -v[14:15], v[37:38], 1.0
	v_fma_f64 v[43:44], v[43:44], v[45:46], v[43:44]
	v_div_scale_f64 v[45:46], s[10:11], -v[6:7], v[12:13], -v[6:7]
	v_fma_f64 v[53:54], -v[31:32], v[39:40], 1.0
	v_fma_f64 v[41:42], v[41:42], v[57:58], v[41:42]
	v_fma_f64 v[37:38], v[37:38], v[49:50], v[37:38]
	v_fma_f64 v[49:50], -v[35:36], v[43:44], 1.0
	v_fma_f64 v[39:40], v[39:40], v[53:54], v[39:40]
	v_mul_f64 v[57:58], v[55:56], v[41:42]
	v_mul_f64 v[53:54], v[47:48], v[37:38]
	v_fma_f64 v[43:44], v[43:44], v[49:50], v[43:44]
	v_mul_f64 v[49:50], v[45:46], v[39:40]
	v_fma_f64 v[33:34], -v[33:34], v[57:58], v[55:56]
	v_fma_f64 v[14:15], -v[14:15], v[53:54], v[47:48]
	v_mul_f64 v[47:48], v[51:52], v[43:44]
	v_fma_f64 v[31:32], -v[31:32], v[49:50], v[45:46]
	v_div_fmas_f64 v[14:15], v[14:15], v[37:38], v[53:54]
	v_fma_f64 v[35:36], -v[35:36], v[47:48], v[51:52]
	s_mov_b64 vcc, s[10:11]
	s_andn2_b64 s[10:11], s[26:27], exec
	v_div_fmas_f64 v[31:32], v[31:32], v[39:40], v[49:50]
	s_mov_b64 vcc, s[12:13]
	v_div_fmas_f64 v[33:34], v[33:34], v[41:42], v[57:58]
	s_mov_b64 vcc, s[8:9]
	s_and_b64 s[12:13], s[20:21], exec
	v_div_fmas_f64 v[35:36], v[35:36], v[43:44], v[47:48]
	s_and_b64 s[8:9], s[18:19], exec
	s_or_b64 s[26:27], s[10:11], s[12:13]
	v_div_fixup_f64 v[33:34], v[33:34], v[4:5], v[8:9]
	v_div_fixup_f64 v[8:9], v[14:15], v[12:13], v[10:11]
	v_div_fixup_f64 v[10:11], v[31:32], v[12:13], -v[6:7]
	v_div_fixup_f64 v[35:36], v[35:36], v[4:5], -v[6:7]
	ds_write2_b64 v3, v[33:34], v[35:36] offset1:1
.LBB49_23:                              ;   in Loop: Header=BB49_9 Depth=1
	s_or_b64 exec, exec, s[28:29]
	s_and_saveexec_b64 s[10:11], s[26:27]
	s_cbranch_execz .LBB49_25
; %bb.24:                               ;   in Loop: Header=BB49_9 Depth=1
	s_lshl_b64 s[12:13], s[14:15], 3
	s_add_u32 s12, s35, s12
	s_addc_u32 s13, s36, s13
	s_waitcnt lgkmcnt(0)
	global_store_dwordx2 v2, v[4:5], s[12:13]
	v_mov_b32_e32 v4, 0
	v_mov_b32_e32 v5, 0x3ff00000
	s_or_b64 s[8:9], s[8:9], exec
.LBB49_25:                              ;   in Loop: Header=BB49_9 Depth=1
	s_or_b64 exec, exec, s[10:11]
	v_mov_b32_e32 v6, 0
	v_mov_b32_e32 v7, 0
	s_and_saveexec_b64 s[10:11], s[8:9]
	s_cbranch_execz .LBB49_27
; %bb.26:                               ;   in Loop: Header=BB49_9 Depth=1
	v_mov_b32_e32 v3, v2
	v_mov_b32_e32 v6, s48
	s_waitcnt lgkmcnt(0)
	ds_write2_b64 v6, v[4:5], v[2:3] offset1:1
	v_mov_b32_e32 v3, s40
	ds_read_b64 v[6:7], v3 offset:8
.LBB49_27:                              ;   in Loop: Header=BB49_9 Depth=1
	s_or_b64 exec, exec, s[10:11]
	v_mov_b32_e32 v3, s40
	ds_read2_b64 v[12:15], v3 offset1:1
	s_lshl_b64 s[8:9], s[14:15], 4
	s_add_u32 s8, s37, s8
	s_addc_u32 s9, s38, s9
	s_waitcnt lgkmcnt(1)
	v_xor_b32_e32 v7, 0x80000000, v7
	ds_write_b64 v3, v[10:11] offset:24
	s_waitcnt lgkmcnt(1)
	global_store_dwordx4 v2, v[12:15], s[8:9]
	ds_write2_b64 v3, v[6:7], v[8:9] offset0:1 offset1:2
.LBB49_28:                              ;   in Loop: Header=BB49_9 Depth=1
	s_or_b64 exec, exec, s[24:25]
	s_waitcnt vmcnt(0) lgkmcnt(0)
	s_barrier
	s_and_saveexec_b64 s[8:9], s[6:7]
	s_cbranch_execz .LBB49_31
; %bb.29:                               ;   in Loop: Header=BB49_9 Depth=1
	s_mov_b32 s10, 0
	s_mov_b64 s[6:7], 0
	v_mov_b32_e32 v3, v0
.LBB49_30:                              ;   Parent Loop BB49_9 Depth=1
                                        ; =>  This Inner Loop Header: Depth=2
	v_mov_b32_e32 v4, s40
	v_add_u32_e32 v14, s10, v24
	ds_read2_b64 v[4:7], v4 offset0:2 offset1:3
	ds_read2_b64 v[8:11], v14 offset1:1
	v_add_u32_e32 v3, 0x100, v3
	s_addk_i32 s10, 0x1000
	v_cmp_le_i32_e32 vcc, s49, v3
	s_or_b64 s[6:7], vcc, s[6:7]
	s_waitcnt lgkmcnt(0)
	v_mul_f64 v[12:13], v[6:7], v[10:11]
	v_mul_f64 v[10:11], v[4:5], v[10:11]
	v_fma_f64 v[4:5], v[4:5], v[8:9], -v[12:13]
	v_fma_f64 v[6:7], v[6:7], v[8:9], v[10:11]
	ds_write2_b64 v14, v[4:5], v[6:7] offset1:1
	s_andn2_b64 exec, exec, s[6:7]
	s_cbranch_execnz .LBB49_30
.LBB49_31:                              ;   in Loop: Header=BB49_9 Depth=1
	s_or_b64 exec, exec, s[8:9]
	s_not_b32 s6, s14
	s_add_i32 s12, s17, s6
	v_cmp_gt_i32_e32 vcc, s12, v0
	s_waitcnt lgkmcnt(0)
	s_barrier
	s_and_saveexec_b64 s[6:7], vcc
	s_cbranch_execz .LBB49_38
; %bb.32:                               ;   in Loop: Header=BB49_9 Depth=1
	s_cmp_gt_i32 s47, 0
	s_mov_b64 s[8:9], 0
	s_cselect_b64 s[10:11], -1, 0
	v_mov_b32_e32 v7, v25
	v_mov_b32_e32 v8, v0
	s_branch .LBB49_35
.LBB49_33:                              ;   in Loop: Header=BB49_35 Depth=2
	v_mov_b32_e32 v5, 0
	v_mov_b32_e32 v6, 0
.LBB49_34:                              ;   in Loop: Header=BB49_35 Depth=2
	v_mov_b32_e32 v9, s40
	ds_read2_b64 v[9:12], v9 offset1:1
	v_add_u32_e32 v7, s43, v7
	s_waitcnt lgkmcnt(0)
	v_mul_f64 v[13:14], v[3:4], v[11:12]
	v_mul_f64 v[11:12], v[5:6], v[11:12]
	v_fma_f64 v[5:6], v[5:6], v[9:10], -v[13:14]
	v_fma_f64 v[3:4], v[3:4], v[9:10], v[11:12]
	v_lshl_add_u32 v9, v8, 4, s39
	v_add_u32_e32 v8, 0x100, v8
	v_cmp_le_i32_e32 vcc, s12, v8
	s_or_b64 s[8:9], vcc, s[8:9]
	ds_write2_b64 v9, v[5:6], v[3:4] offset1:1
	s_andn2_b64 exec, exec, s[8:9]
	s_cbranch_execz .LBB49_38
.LBB49_35:                              ;   Parent Loop BB49_9 Depth=1
                                        ; =>  This Loop Header: Depth=2
                                        ;       Child Loop BB49_37 Depth 3
	v_mov_b32_e32 v3, 0
	v_mov_b32_e32 v4, 0
	s_andn2_b64 vcc, exec, s[10:11]
	s_cbranch_vccnz .LBB49_33
; %bb.36:                               ;   in Loop: Header=BB49_35 Depth=2
	v_mov_b32_e32 v5, 0
	s_mov_b32 s13, s44
	s_mov_b32 s24, s46
	v_mov_b32_e32 v6, 0
	v_mov_b32_e32 v9, v7
.LBB49_37:                              ;   Parent Loop BB49_9 Depth=1
                                        ;     Parent Loop BB49_35 Depth=2
                                        ; =>    This Inner Loop Header: Depth=3
	v_mov_b32_e32 v14, s13
	ds_read2_b64 v[10:13], v9 offset1:1
	ds_read2_b64 v[31:34], v14 offset1:1
	s_add_i32 s24, s24, -1
	s_add_i32 s13, s13, 16
	s_cmp_eq_u32 s24, 0
	v_add_u32_e32 v9, 16, v9
	s_waitcnt lgkmcnt(0)
	v_mul_f64 v[14:15], v[33:34], v[12:13]
	v_mul_f64 v[33:34], v[33:34], v[10:11]
	v_fma_f64 v[10:11], v[31:32], v[10:11], v[14:15]
	v_fma_f64 v[12:13], v[31:32], v[12:13], -v[33:34]
	v_add_f64 v[5:6], v[5:6], v[10:11]
	v_add_f64 v[3:4], v[3:4], v[12:13]
	s_cbranch_scc0 .LBB49_37
	s_branch .LBB49_34
.LBB49_38:                              ;   in Loop: Header=BB49_9 Depth=1
	s_or_b64 exec, exec, s[6:7]
	v_cmp_gt_i32_e32 vcc, s47, v0
	s_waitcnt lgkmcnt(0)
	s_barrier
	s_and_saveexec_b64 s[6:7], vcc
	s_cbranch_execz .LBB49_8
; %bb.39:                               ;   in Loop: Header=BB49_9 Depth=1
	s_cmp_gt_i32 s12, 0
	s_mov_b64 s[8:9], 0
	s_cselect_b64 s[10:11], -1, 0
	v_mov_b32_e32 v3, v26
	v_mov_b32_e32 v4, v0
	s_branch .LBB49_41
.LBB49_40:                              ;   in Loop: Header=BB49_41 Depth=2
	v_add_u32_e32 v4, 0x100, v4
	v_cmp_le_i32_e32 vcc, s47, v4
	s_or_b64 s[8:9], vcc, s[8:9]
	v_add_u32_e32 v3, 0x1000, v3
	s_andn2_b64 exec, exec, s[8:9]
	s_cbranch_execz .LBB49_8
.LBB49_41:                              ;   Parent Loop BB49_9 Depth=1
                                        ; =>  This Loop Header: Depth=2
                                        ;       Child Loop BB49_43 Depth 3
	s_andn2_b64 vcc, exec, s[10:11]
	s_cbranch_vccnz .LBB49_40
; %bb.42:                               ;   in Loop: Header=BB49_41 Depth=2
	v_lshl_add_u32 v5, v4, 4, s48
	s_mov_b32 s12, 1
	s_mov_b32 s13, s39
	v_mov_b32_e32 v6, v3
.LBB49_43:                              ;   Parent Loop BB49_9 Depth=1
                                        ;     Parent Loop BB49_41 Depth=2
                                        ; =>    This Inner Loop Header: Depth=3
	v_mov_b32_e32 v11, s13
	ds_read2_b64 v[7:10], v5 offset1:1
	ds_read2_b64 v[11:14], v11 offset1:1
	s_add_i32 s12, s12, 1
	s_add_i32 s13, s13, 16
	s_cmp_eq_u32 s45, s12
	s_waitcnt lgkmcnt(0)
	v_mul_f64 v[31:32], v[13:14], v[9:10]
	v_mul_f64 v[9:10], v[11:12], v[9:10]
	v_fma_f64 v[11:12], v[11:12], v[7:8], -v[31:32]
	v_fma_f64 v[13:14], v[13:14], v[7:8], v[9:10]
	ds_read2_b64 v[7:10], v6 offset1:1
	s_waitcnt lgkmcnt(0)
	v_add_f64 v[7:8], v[7:8], -v[11:12]
	v_add_f64 v[9:10], v[9:10], -v[13:14]
	ds_write2_b64 v6, v[7:8], v[9:10] offset1:1
	v_add_u32_e32 v6, s41, v6
	s_cbranch_scc0 .LBB49_43
	s_branch .LBB49_40
.LBB49_44:
	s_and_saveexec_b64 s[2:3], s[0:1]
	s_cbranch_execz .LBB49_50
; %bb.45:
	v_mul_lo_u32 v0, s16, v16
	v_mad_u64_u32 v[2:3], s[0:1], s33, v16, v[1:2]
	v_cmp_gt_i32_e32 vcc, s17, v16
	v_lshlrev_b32_e32 v0, 4, v0
	s_lshl_b32 s8, s33, 1
	v_add3_u32 v0, v0, v17, 0
	s_lshl_b32 s9, s16, 5
	s_mov_b64 s[2:3], 0
	s_branch .LBB49_47
.LBB49_46:                              ;   in Loop: Header=BB49_47 Depth=1
	s_or_b64 exec, exec, s[4:5]
	v_add_u32_e32 v1, 0x80, v1
	v_cmp_le_i32_e64 s[0:1], s16, v1
	v_add_u32_e32 v2, 0x80, v2
	s_or_b64 s[2:3], s[0:1], s[2:3]
	v_add_u32_e32 v0, 0x800, v0
	s_andn2_b64 exec, exec, s[2:3]
	s_cbranch_execz .LBB49_50
.LBB49_47:                              ; =>This Loop Header: Depth=1
                                        ;     Child Loop BB49_49 Depth 2
	s_and_saveexec_b64 s[4:5], vcc
	s_cbranch_execz .LBB49_46
; %bb.48:                               ;   in Loop: Header=BB49_47 Depth=1
	s_mov_b64 s[6:7], 0
	v_mov_b32_e32 v5, v0
	v_mov_b32_e32 v3, v2
	;; [unrolled: 1-line block ×3, first 2 shown]
.LBB49_49:                              ;   Parent Loop BB49_47 Depth=1
                                        ; =>  This Inner Loop Header: Depth=2
	v_ashrrev_i32_e32 v4, 31, v3
	ds_read2_b64 v[7:10], v5 offset1:1
	v_add_u32_e32 v6, 2, v6
	v_lshlrev_b64 v[11:12], 4, v[3:4]
	v_cmp_le_i32_e64 s[0:1], s17, v6
	v_mov_b32_e32 v13, s31
	s_or_b64 s[6:7], s[0:1], s[6:7]
	v_add_co_u32_e64 v11, s[0:1], s30, v11
	v_add_u32_e32 v5, s9, v5
	v_add_u32_e32 v3, s8, v3
	v_addc_co_u32_e64 v12, s[0:1], v13, v12, s[0:1]
	s_waitcnt lgkmcnt(0)
	flat_store_dwordx4 v[11:12], v[7:10]
	s_andn2_b64 exec, exec, s[6:7]
	s_cbranch_execnz .LBB49_49
	s_branch .LBB49_46
.LBB49_50:
	s_endpgm
	.section	.rodata,"a",@progbits
	.p2align	6, 0x0
	.amdhsa_kernel _ZN9rocsolver6v33100L18geqr2_kernel_smallILi256E19rocblas_complex_numIdEidPKPS3_EEvT1_S7_T3_lS7_lPT2_lPT0_l
		.amdhsa_group_segment_fixed_size 0
		.amdhsa_private_segment_fixed_size 0
		.amdhsa_kernarg_size 72
		.amdhsa_user_sgpr_count 6
		.amdhsa_user_sgpr_private_segment_buffer 1
		.amdhsa_user_sgpr_dispatch_ptr 0
		.amdhsa_user_sgpr_queue_ptr 0
		.amdhsa_user_sgpr_kernarg_segment_ptr 1
		.amdhsa_user_sgpr_dispatch_id 0
		.amdhsa_user_sgpr_flat_scratch_init 0
		.amdhsa_user_sgpr_private_segment_size 0
		.amdhsa_uses_dynamic_stack 0
		.amdhsa_system_sgpr_private_segment_wavefront_offset 0
		.amdhsa_system_sgpr_workgroup_id_x 1
		.amdhsa_system_sgpr_workgroup_id_y 0
		.amdhsa_system_sgpr_workgroup_id_z 1
		.amdhsa_system_sgpr_workgroup_info 0
		.amdhsa_system_vgpr_workitem_id 0
		.amdhsa_next_free_vgpr 59
		.amdhsa_next_free_sgpr 50
		.amdhsa_reserve_vcc 1
		.amdhsa_reserve_flat_scratch 0
		.amdhsa_float_round_mode_32 0
		.amdhsa_float_round_mode_16_64 0
		.amdhsa_float_denorm_mode_32 3
		.amdhsa_float_denorm_mode_16_64 3
		.amdhsa_dx10_clamp 1
		.amdhsa_ieee_mode 1
		.amdhsa_fp16_overflow 0
		.amdhsa_exception_fp_ieee_invalid_op 0
		.amdhsa_exception_fp_denorm_src 0
		.amdhsa_exception_fp_ieee_div_zero 0
		.amdhsa_exception_fp_ieee_overflow 0
		.amdhsa_exception_fp_ieee_underflow 0
		.amdhsa_exception_fp_ieee_inexact 0
		.amdhsa_exception_int_div_zero 0
	.end_amdhsa_kernel
	.section	.text._ZN9rocsolver6v33100L18geqr2_kernel_smallILi256E19rocblas_complex_numIdEidPKPS3_EEvT1_S7_T3_lS7_lPT2_lPT0_l,"axG",@progbits,_ZN9rocsolver6v33100L18geqr2_kernel_smallILi256E19rocblas_complex_numIdEidPKPS3_EEvT1_S7_T3_lS7_lPT2_lPT0_l,comdat
.Lfunc_end49:
	.size	_ZN9rocsolver6v33100L18geqr2_kernel_smallILi256E19rocblas_complex_numIdEidPKPS3_EEvT1_S7_T3_lS7_lPT2_lPT0_l, .Lfunc_end49-_ZN9rocsolver6v33100L18geqr2_kernel_smallILi256E19rocblas_complex_numIdEidPKPS3_EEvT1_S7_T3_lS7_lPT2_lPT0_l
                                        ; -- End function
	.set _ZN9rocsolver6v33100L18geqr2_kernel_smallILi256E19rocblas_complex_numIdEidPKPS3_EEvT1_S7_T3_lS7_lPT2_lPT0_l.num_vgpr, 59
	.set _ZN9rocsolver6v33100L18geqr2_kernel_smallILi256E19rocblas_complex_numIdEidPKPS3_EEvT1_S7_T3_lS7_lPT2_lPT0_l.num_agpr, 0
	.set _ZN9rocsolver6v33100L18geqr2_kernel_smallILi256E19rocblas_complex_numIdEidPKPS3_EEvT1_S7_T3_lS7_lPT2_lPT0_l.numbered_sgpr, 50
	.set _ZN9rocsolver6v33100L18geqr2_kernel_smallILi256E19rocblas_complex_numIdEidPKPS3_EEvT1_S7_T3_lS7_lPT2_lPT0_l.num_named_barrier, 0
	.set _ZN9rocsolver6v33100L18geqr2_kernel_smallILi256E19rocblas_complex_numIdEidPKPS3_EEvT1_S7_T3_lS7_lPT2_lPT0_l.private_seg_size, 0
	.set _ZN9rocsolver6v33100L18geqr2_kernel_smallILi256E19rocblas_complex_numIdEidPKPS3_EEvT1_S7_T3_lS7_lPT2_lPT0_l.uses_vcc, 1
	.set _ZN9rocsolver6v33100L18geqr2_kernel_smallILi256E19rocblas_complex_numIdEidPKPS3_EEvT1_S7_T3_lS7_lPT2_lPT0_l.uses_flat_scratch, 0
	.set _ZN9rocsolver6v33100L18geqr2_kernel_smallILi256E19rocblas_complex_numIdEidPKPS3_EEvT1_S7_T3_lS7_lPT2_lPT0_l.has_dyn_sized_stack, 0
	.set _ZN9rocsolver6v33100L18geqr2_kernel_smallILi256E19rocblas_complex_numIdEidPKPS3_EEvT1_S7_T3_lS7_lPT2_lPT0_l.has_recursion, 0
	.set _ZN9rocsolver6v33100L18geqr2_kernel_smallILi256E19rocblas_complex_numIdEidPKPS3_EEvT1_S7_T3_lS7_lPT2_lPT0_l.has_indirect_call, 0
	.section	.AMDGPU.csdata,"",@progbits
; Kernel info:
; codeLenInByte = 3152
; TotalNumSgprs: 54
; NumVgprs: 59
; ScratchSize: 0
; MemoryBound: 0
; FloatMode: 240
; IeeeMode: 1
; LDSByteSize: 0 bytes/workgroup (compile time only)
; SGPRBlocks: 6
; VGPRBlocks: 14
; NumSGPRsForWavesPerEU: 54
; NumVGPRsForWavesPerEU: 59
; Occupancy: 4
; WaveLimiterHint : 1
; COMPUTE_PGM_RSRC2:SCRATCH_EN: 0
; COMPUTE_PGM_RSRC2:USER_SGPR: 6
; COMPUTE_PGM_RSRC2:TRAP_HANDLER: 0
; COMPUTE_PGM_RSRC2:TGID_X_EN: 1
; COMPUTE_PGM_RSRC2:TGID_Y_EN: 0
; COMPUTE_PGM_RSRC2:TGID_Z_EN: 1
; COMPUTE_PGM_RSRC2:TIDIG_COMP_CNT: 0
	.section	.text._ZN9rocsolver6v33100L16reset_batch_infoI19rocblas_complex_numIdEiiPS3_EEvT2_lT0_T1_,"axG",@progbits,_ZN9rocsolver6v33100L16reset_batch_infoI19rocblas_complex_numIdEiiPS3_EEvT2_lT0_T1_,comdat
	.globl	_ZN9rocsolver6v33100L16reset_batch_infoI19rocblas_complex_numIdEiiPS3_EEvT2_lT0_T1_ ; -- Begin function _ZN9rocsolver6v33100L16reset_batch_infoI19rocblas_complex_numIdEiiPS3_EEvT2_lT0_T1_
	.p2align	8
	.type	_ZN9rocsolver6v33100L16reset_batch_infoI19rocblas_complex_numIdEiiPS3_EEvT2_lT0_T1_,@function
_ZN9rocsolver6v33100L16reset_batch_infoI19rocblas_complex_numIdEiiPS3_EEvT2_lT0_T1_: ; @_ZN9rocsolver6v33100L16reset_batch_infoI19rocblas_complex_numIdEiiPS3_EEvT2_lT0_T1_
; %bb.0:
	s_load_dword s2, s[4:5], 0x24
	s_load_dwordx2 s[0:1], s[4:5], 0x10
	s_waitcnt lgkmcnt(0)
	s_and_b32 s2, s2, 0xffff
	s_mul_i32 s6, s6, s2
	v_add_u32_e32 v0, s6, v0
	v_cmp_gt_i32_e32 vcc, s0, v0
	s_and_saveexec_b64 s[2:3], vcc
	s_cbranch_execz .LBB50_2
; %bb.1:
	s_load_dwordx4 s[8:11], s[4:5], 0x0
	s_ashr_i32 s0, s7, 31
	v_ashrrev_i32_e32 v1, 31, v0
	v_lshlrev_b64 v[2:3], 4, v[0:1]
	v_cvt_f64_i32_e32 v[0:1], s1
	s_waitcnt lgkmcnt(0)
	s_mul_hi_u32 s3, s10, s7
	s_mul_i32 s0, s10, s0
	s_mul_i32 s4, s11, s7
	s_add_i32 s0, s3, s0
	s_mul_i32 s2, s10, s7
	s_add_i32 s3, s0, s4
	s_lshl_b64 s[2:3], s[2:3], 4
	s_add_u32 s0, s8, s2
	s_addc_u32 s2, s9, s3
	v_mov_b32_e32 v5, s2
	v_add_co_u32_e32 v4, vcc, s0, v2
	v_mov_b32_e32 v2, 0
	v_addc_co_u32_e32 v5, vcc, v5, v3, vcc
	v_mov_b32_e32 v3, v2
	global_store_dwordx4 v[4:5], v[0:3], off
.LBB50_2:
	s_endpgm
	.section	.rodata,"a",@progbits
	.p2align	6, 0x0
	.amdhsa_kernel _ZN9rocsolver6v33100L16reset_batch_infoI19rocblas_complex_numIdEiiPS3_EEvT2_lT0_T1_
		.amdhsa_group_segment_fixed_size 0
		.amdhsa_private_segment_fixed_size 0
		.amdhsa_kernarg_size 280
		.amdhsa_user_sgpr_count 6
		.amdhsa_user_sgpr_private_segment_buffer 1
		.amdhsa_user_sgpr_dispatch_ptr 0
		.amdhsa_user_sgpr_queue_ptr 0
		.amdhsa_user_sgpr_kernarg_segment_ptr 1
		.amdhsa_user_sgpr_dispatch_id 0
		.amdhsa_user_sgpr_flat_scratch_init 0
		.amdhsa_user_sgpr_private_segment_size 0
		.amdhsa_uses_dynamic_stack 0
		.amdhsa_system_sgpr_private_segment_wavefront_offset 0
		.amdhsa_system_sgpr_workgroup_id_x 1
		.amdhsa_system_sgpr_workgroup_id_y 1
		.amdhsa_system_sgpr_workgroup_id_z 0
		.amdhsa_system_sgpr_workgroup_info 0
		.amdhsa_system_vgpr_workitem_id 0
		.amdhsa_next_free_vgpr 6
		.amdhsa_next_free_sgpr 12
		.amdhsa_reserve_vcc 1
		.amdhsa_reserve_flat_scratch 0
		.amdhsa_float_round_mode_32 0
		.amdhsa_float_round_mode_16_64 0
		.amdhsa_float_denorm_mode_32 3
		.amdhsa_float_denorm_mode_16_64 3
		.amdhsa_dx10_clamp 1
		.amdhsa_ieee_mode 1
		.amdhsa_fp16_overflow 0
		.amdhsa_exception_fp_ieee_invalid_op 0
		.amdhsa_exception_fp_denorm_src 0
		.amdhsa_exception_fp_ieee_div_zero 0
		.amdhsa_exception_fp_ieee_overflow 0
		.amdhsa_exception_fp_ieee_underflow 0
		.amdhsa_exception_fp_ieee_inexact 0
		.amdhsa_exception_int_div_zero 0
	.end_amdhsa_kernel
	.section	.text._ZN9rocsolver6v33100L16reset_batch_infoI19rocblas_complex_numIdEiiPS3_EEvT2_lT0_T1_,"axG",@progbits,_ZN9rocsolver6v33100L16reset_batch_infoI19rocblas_complex_numIdEiiPS3_EEvT2_lT0_T1_,comdat
.Lfunc_end50:
	.size	_ZN9rocsolver6v33100L16reset_batch_infoI19rocblas_complex_numIdEiiPS3_EEvT2_lT0_T1_, .Lfunc_end50-_ZN9rocsolver6v33100L16reset_batch_infoI19rocblas_complex_numIdEiiPS3_EEvT2_lT0_T1_
                                        ; -- End function
	.set _ZN9rocsolver6v33100L16reset_batch_infoI19rocblas_complex_numIdEiiPS3_EEvT2_lT0_T1_.num_vgpr, 6
	.set _ZN9rocsolver6v33100L16reset_batch_infoI19rocblas_complex_numIdEiiPS3_EEvT2_lT0_T1_.num_agpr, 0
	.set _ZN9rocsolver6v33100L16reset_batch_infoI19rocblas_complex_numIdEiiPS3_EEvT2_lT0_T1_.numbered_sgpr, 12
	.set _ZN9rocsolver6v33100L16reset_batch_infoI19rocblas_complex_numIdEiiPS3_EEvT2_lT0_T1_.num_named_barrier, 0
	.set _ZN9rocsolver6v33100L16reset_batch_infoI19rocblas_complex_numIdEiiPS3_EEvT2_lT0_T1_.private_seg_size, 0
	.set _ZN9rocsolver6v33100L16reset_batch_infoI19rocblas_complex_numIdEiiPS3_EEvT2_lT0_T1_.uses_vcc, 1
	.set _ZN9rocsolver6v33100L16reset_batch_infoI19rocblas_complex_numIdEiiPS3_EEvT2_lT0_T1_.uses_flat_scratch, 0
	.set _ZN9rocsolver6v33100L16reset_batch_infoI19rocblas_complex_numIdEiiPS3_EEvT2_lT0_T1_.has_dyn_sized_stack, 0
	.set _ZN9rocsolver6v33100L16reset_batch_infoI19rocblas_complex_numIdEiiPS3_EEvT2_lT0_T1_.has_recursion, 0
	.set _ZN9rocsolver6v33100L16reset_batch_infoI19rocblas_complex_numIdEiiPS3_EEvT2_lT0_T1_.has_indirect_call, 0
	.section	.AMDGPU.csdata,"",@progbits
; Kernel info:
; codeLenInByte = 148
; TotalNumSgprs: 16
; NumVgprs: 6
; ScratchSize: 0
; MemoryBound: 0
; FloatMode: 240
; IeeeMode: 1
; LDSByteSize: 0 bytes/workgroup (compile time only)
; SGPRBlocks: 1
; VGPRBlocks: 1
; NumSGPRsForWavesPerEU: 16
; NumVGPRsForWavesPerEU: 6
; Occupancy: 10
; WaveLimiterHint : 0
; COMPUTE_PGM_RSRC2:SCRATCH_EN: 0
; COMPUTE_PGM_RSRC2:USER_SGPR: 6
; COMPUTE_PGM_RSRC2:TRAP_HANDLER: 0
; COMPUTE_PGM_RSRC2:TGID_X_EN: 1
; COMPUTE_PGM_RSRC2:TGID_Y_EN: 1
; COMPUTE_PGM_RSRC2:TGID_Z_EN: 0
; COMPUTE_PGM_RSRC2:TIDIG_COMP_CNT: 0
	.section	.text._ZN9rocsolver6v33100L8set_diagI19rocblas_complex_numIdEidPKPS3_TnNSt9enable_ifIXaa18rocblas_is_complexIT_Ent18rocblas_is_complexIT1_EEiE4typeELi0EEEvPS9_llT2_lT0_lSE_b,"axG",@progbits,_ZN9rocsolver6v33100L8set_diagI19rocblas_complex_numIdEidPKPS3_TnNSt9enable_ifIXaa18rocblas_is_complexIT_Ent18rocblas_is_complexIT1_EEiE4typeELi0EEEvPS9_llT2_lT0_lSE_b,comdat
	.globl	_ZN9rocsolver6v33100L8set_diagI19rocblas_complex_numIdEidPKPS3_TnNSt9enable_ifIXaa18rocblas_is_complexIT_Ent18rocblas_is_complexIT1_EEiE4typeELi0EEEvPS9_llT2_lT0_lSE_b ; -- Begin function _ZN9rocsolver6v33100L8set_diagI19rocblas_complex_numIdEidPKPS3_TnNSt9enable_ifIXaa18rocblas_is_complexIT_Ent18rocblas_is_complexIT1_EEiE4typeELi0EEEvPS9_llT2_lT0_lSE_b
	.p2align	8
	.type	_ZN9rocsolver6v33100L8set_diagI19rocblas_complex_numIdEidPKPS3_TnNSt9enable_ifIXaa18rocblas_is_complexIT_Ent18rocblas_is_complexIT1_EEiE4typeELi0EEEvPS9_llT2_lT0_lSE_b,@function
_ZN9rocsolver6v33100L8set_diagI19rocblas_complex_numIdEidPKPS3_TnNSt9enable_ifIXaa18rocblas_is_complexIT_Ent18rocblas_is_complexIT1_EEiE4typeELi0EEEvPS9_llT2_lT0_lSE_b: ; @_ZN9rocsolver6v33100L8set_diagI19rocblas_complex_numIdEidPKPS3_TnNSt9enable_ifIXaa18rocblas_is_complexIT_Ent18rocblas_is_complexIT1_EEiE4typeELi0EEEvPS9_llT2_lT0_lSE_b
; %bb.0:
	s_load_dword s2, s[4:5], 0x4c
	s_load_dwordx2 s[0:1], s[4:5], 0x38
	s_waitcnt lgkmcnt(0)
	s_lshr_b32 s2, s2, 16
	s_mul_i32 s7, s7, s2
	v_add_u32_e32 v2, s7, v1
	v_cmp_gt_i32_e32 vcc, s0, v2
	s_and_saveexec_b64 s[2:3], vcc
	s_cbranch_execz .LBB51_5
; %bb.1:
	s_load_dwordx8 s[8:15], s[4:5], 0x0
	s_load_dwordx2 s[2:3], s[4:5], 0x20
	s_load_dword s16, s[4:5], 0x28
	s_bitcmp1_b32 s1, 0
	s_cselect_b64 s[0:1], -1, 0
	s_ashr_i32 s7, s6, 31
	s_lshl_b64 s[4:5], s[6:7], 3
	s_waitcnt lgkmcnt(0)
	s_add_u32 s4, s14, s4
	s_addc_u32 s5, s15, s5
	s_load_dwordx2 s[4:5], s[4:5], 0x0
	v_mad_u64_u32 v[0:1], s[14:15], v2, s16, v[2:3]
	s_lshl_b64 s[2:3], s[2:3], 4
	v_ashrrev_i32_e32 v1, 31, v0
	s_waitcnt lgkmcnt(0)
	s_add_u32 s2, s4, s2
	v_lshlrev_b64 v[0:1], 4, v[0:1]
	s_addc_u32 s3, s5, s3
	v_mov_b32_e32 v3, s3
	v_add_co_u32_e32 v4, vcc, s2, v0
	v_addc_co_u32_e32 v5, vcc, v3, v1, vcc
	flat_load_dwordx2 v[0:1], v[4:5]
	s_mul_hi_u32 s3, s12, s6
	s_mul_i32 s4, s12, s7
	s_mul_i32 s5, s13, s6
	s_add_i32 s3, s3, s4
	s_mul_i32 s2, s12, s6
	s_add_i32 s3, s3, s5
	s_lshl_b64 s[2:3], s[2:3], 3
	s_add_u32 s4, s8, s2
	v_ashrrev_i32_e32 v3, 31, v2
	s_addc_u32 s5, s9, s3
	s_lshl_b64 s[2:3], s[10:11], 3
	v_lshlrev_b64 v[2:3], 3, v[2:3]
	s_add_u32 s2, s4, s2
	s_addc_u32 s3, s5, s3
	s_and_b64 vcc, exec, s[0:1]
	v_mov_b32_e32 v6, s3
	v_add_co_u32_e64 v2, s[0:1], s2, v2
	v_addc_co_u32_e64 v3, s[0:1], v6, v3, s[0:1]
	s_waitcnt vmcnt(0) lgkmcnt(0)
	global_store_dwordx2 v[2:3], v[0:1], off
	s_cbranch_vccnz .LBB51_3
; %bb.2:
	flat_load_dwordx2 v[2:3], v[4:5] offset:8
	s_branch .LBB51_4
.LBB51_3:
	v_mov_b32_e32 v0, 0
	v_mov_b32_e32 v2, 0
	;; [unrolled: 1-line block ×4, first 2 shown]
.LBB51_4:
	s_waitcnt vmcnt(0) lgkmcnt(0)
	flat_store_dwordx4 v[4:5], v[0:3]
.LBB51_5:
	s_endpgm
	.section	.rodata,"a",@progbits
	.p2align	6, 0x0
	.amdhsa_kernel _ZN9rocsolver6v33100L8set_diagI19rocblas_complex_numIdEidPKPS3_TnNSt9enable_ifIXaa18rocblas_is_complexIT_Ent18rocblas_is_complexIT1_EEiE4typeELi0EEEvPS9_llT2_lT0_lSE_b
		.amdhsa_group_segment_fixed_size 0
		.amdhsa_private_segment_fixed_size 0
		.amdhsa_kernarg_size 320
		.amdhsa_user_sgpr_count 6
		.amdhsa_user_sgpr_private_segment_buffer 1
		.amdhsa_user_sgpr_dispatch_ptr 0
		.amdhsa_user_sgpr_queue_ptr 0
		.amdhsa_user_sgpr_kernarg_segment_ptr 1
		.amdhsa_user_sgpr_dispatch_id 0
		.amdhsa_user_sgpr_flat_scratch_init 0
		.amdhsa_user_sgpr_private_segment_size 0
		.amdhsa_uses_dynamic_stack 0
		.amdhsa_system_sgpr_private_segment_wavefront_offset 0
		.amdhsa_system_sgpr_workgroup_id_x 1
		.amdhsa_system_sgpr_workgroup_id_y 1
		.amdhsa_system_sgpr_workgroup_id_z 0
		.amdhsa_system_sgpr_workgroup_info 0
		.amdhsa_system_vgpr_workitem_id 1
		.amdhsa_next_free_vgpr 7
		.amdhsa_next_free_sgpr 17
		.amdhsa_reserve_vcc 1
		.amdhsa_reserve_flat_scratch 0
		.amdhsa_float_round_mode_32 0
		.amdhsa_float_round_mode_16_64 0
		.amdhsa_float_denorm_mode_32 3
		.amdhsa_float_denorm_mode_16_64 3
		.amdhsa_dx10_clamp 1
		.amdhsa_ieee_mode 1
		.amdhsa_fp16_overflow 0
		.amdhsa_exception_fp_ieee_invalid_op 0
		.amdhsa_exception_fp_denorm_src 0
		.amdhsa_exception_fp_ieee_div_zero 0
		.amdhsa_exception_fp_ieee_overflow 0
		.amdhsa_exception_fp_ieee_underflow 0
		.amdhsa_exception_fp_ieee_inexact 0
		.amdhsa_exception_int_div_zero 0
	.end_amdhsa_kernel
	.section	.text._ZN9rocsolver6v33100L8set_diagI19rocblas_complex_numIdEidPKPS3_TnNSt9enable_ifIXaa18rocblas_is_complexIT_Ent18rocblas_is_complexIT1_EEiE4typeELi0EEEvPS9_llT2_lT0_lSE_b,"axG",@progbits,_ZN9rocsolver6v33100L8set_diagI19rocblas_complex_numIdEidPKPS3_TnNSt9enable_ifIXaa18rocblas_is_complexIT_Ent18rocblas_is_complexIT1_EEiE4typeELi0EEEvPS9_llT2_lT0_lSE_b,comdat
.Lfunc_end51:
	.size	_ZN9rocsolver6v33100L8set_diagI19rocblas_complex_numIdEidPKPS3_TnNSt9enable_ifIXaa18rocblas_is_complexIT_Ent18rocblas_is_complexIT1_EEiE4typeELi0EEEvPS9_llT2_lT0_lSE_b, .Lfunc_end51-_ZN9rocsolver6v33100L8set_diagI19rocblas_complex_numIdEidPKPS3_TnNSt9enable_ifIXaa18rocblas_is_complexIT_Ent18rocblas_is_complexIT1_EEiE4typeELi0EEEvPS9_llT2_lT0_lSE_b
                                        ; -- End function
	.set _ZN9rocsolver6v33100L8set_diagI19rocblas_complex_numIdEidPKPS3_TnNSt9enable_ifIXaa18rocblas_is_complexIT_Ent18rocblas_is_complexIT1_EEiE4typeELi0EEEvPS9_llT2_lT0_lSE_b.num_vgpr, 7
	.set _ZN9rocsolver6v33100L8set_diagI19rocblas_complex_numIdEidPKPS3_TnNSt9enable_ifIXaa18rocblas_is_complexIT_Ent18rocblas_is_complexIT1_EEiE4typeELi0EEEvPS9_llT2_lT0_lSE_b.num_agpr, 0
	.set _ZN9rocsolver6v33100L8set_diagI19rocblas_complex_numIdEidPKPS3_TnNSt9enable_ifIXaa18rocblas_is_complexIT_Ent18rocblas_is_complexIT1_EEiE4typeELi0EEEvPS9_llT2_lT0_lSE_b.numbered_sgpr, 17
	.set _ZN9rocsolver6v33100L8set_diagI19rocblas_complex_numIdEidPKPS3_TnNSt9enable_ifIXaa18rocblas_is_complexIT_Ent18rocblas_is_complexIT1_EEiE4typeELi0EEEvPS9_llT2_lT0_lSE_b.num_named_barrier, 0
	.set _ZN9rocsolver6v33100L8set_diagI19rocblas_complex_numIdEidPKPS3_TnNSt9enable_ifIXaa18rocblas_is_complexIT_Ent18rocblas_is_complexIT1_EEiE4typeELi0EEEvPS9_llT2_lT0_lSE_b.private_seg_size, 0
	.set _ZN9rocsolver6v33100L8set_diagI19rocblas_complex_numIdEidPKPS3_TnNSt9enable_ifIXaa18rocblas_is_complexIT_Ent18rocblas_is_complexIT1_EEiE4typeELi0EEEvPS9_llT2_lT0_lSE_b.uses_vcc, 1
	.set _ZN9rocsolver6v33100L8set_diagI19rocblas_complex_numIdEidPKPS3_TnNSt9enable_ifIXaa18rocblas_is_complexIT_Ent18rocblas_is_complexIT1_EEiE4typeELi0EEEvPS9_llT2_lT0_lSE_b.uses_flat_scratch, 0
	.set _ZN9rocsolver6v33100L8set_diagI19rocblas_complex_numIdEidPKPS3_TnNSt9enable_ifIXaa18rocblas_is_complexIT_Ent18rocblas_is_complexIT1_EEiE4typeELi0EEEvPS9_llT2_lT0_lSE_b.has_dyn_sized_stack, 0
	.set _ZN9rocsolver6v33100L8set_diagI19rocblas_complex_numIdEidPKPS3_TnNSt9enable_ifIXaa18rocblas_is_complexIT_Ent18rocblas_is_complexIT1_EEiE4typeELi0EEEvPS9_llT2_lT0_lSE_b.has_recursion, 0
	.set _ZN9rocsolver6v33100L8set_diagI19rocblas_complex_numIdEidPKPS3_TnNSt9enable_ifIXaa18rocblas_is_complexIT_Ent18rocblas_is_complexIT1_EEiE4typeELi0EEEvPS9_llT2_lT0_lSE_b.has_indirect_call, 0
	.section	.AMDGPU.csdata,"",@progbits
; Kernel info:
; codeLenInByte = 308
; TotalNumSgprs: 21
; NumVgprs: 7
; ScratchSize: 0
; MemoryBound: 0
; FloatMode: 240
; IeeeMode: 1
; LDSByteSize: 0 bytes/workgroup (compile time only)
; SGPRBlocks: 2
; VGPRBlocks: 1
; NumSGPRsForWavesPerEU: 21
; NumVGPRsForWavesPerEU: 7
; Occupancy: 10
; WaveLimiterHint : 1
; COMPUTE_PGM_RSRC2:SCRATCH_EN: 0
; COMPUTE_PGM_RSRC2:USER_SGPR: 6
; COMPUTE_PGM_RSRC2:TRAP_HANDLER: 0
; COMPUTE_PGM_RSRC2:TGID_X_EN: 1
; COMPUTE_PGM_RSRC2:TGID_Y_EN: 1
; COMPUTE_PGM_RSRC2:TGID_Z_EN: 0
; COMPUTE_PGM_RSRC2:TIDIG_COMP_CNT: 1
	.section	.text._ZN9rocsolver6v33100L11set_taubetaI19rocblas_complex_numIdEidPKPS3_EEvPT_lS8_T2_llPT1_ll,"axG",@progbits,_ZN9rocsolver6v33100L11set_taubetaI19rocblas_complex_numIdEidPKPS3_EEvPT_lS8_T2_llPT1_ll,comdat
	.globl	_ZN9rocsolver6v33100L11set_taubetaI19rocblas_complex_numIdEidPKPS3_EEvPT_lS8_T2_llPT1_ll ; -- Begin function _ZN9rocsolver6v33100L11set_taubetaI19rocblas_complex_numIdEidPKPS3_EEvPT_lS8_T2_llPT1_ll
	.p2align	8
	.type	_ZN9rocsolver6v33100L11set_taubetaI19rocblas_complex_numIdEidPKPS3_EEvPT_lS8_T2_llPT1_ll,@function
_ZN9rocsolver6v33100L11set_taubetaI19rocblas_complex_numIdEidPKPS3_EEvPT_lS8_T2_llPT1_ll: ; @_ZN9rocsolver6v33100L11set_taubetaI19rocblas_complex_numIdEidPKPS3_EEvPT_lS8_T2_llPT1_ll
; %bb.0:
	s_load_dwordx8 s[8:15], s[4:5], 0x0
	s_load_dwordx2 s[18:19], s[4:5], 0x20
	s_load_dwordx4 s[0:3], s[4:5], 0x30
	s_ashr_i32 s7, s6, 31
	s_lshl_b64 s[16:17], s[6:7], 3
	s_waitcnt lgkmcnt(0)
	s_add_u32 s14, s14, s16
	s_addc_u32 s15, s15, s17
	s_load_dwordx2 s[20:21], s[14:15], 0x0
	s_mov_b64 s[16:17], 0
	s_cmp_eq_u64 s[0:1], 0
	s_mov_b64 s[14:15], 0
	s_cbranch_scc1 .LBB52_2
; %bb.1:
	s_load_dwordx2 s[4:5], s[4:5], 0x40
	s_waitcnt lgkmcnt(0)
	s_mul_i32 s14, s4, s7
	s_mul_hi_u32 s15, s4, s6
	s_mul_i32 s5, s5, s6
	s_add_i32 s14, s15, s14
	s_mul_i32 s4, s4, s6
	s_add_i32 s5, s14, s5
	s_lshl_b64 s[4:5], s[4:5], 3
	s_add_u32 s4, s0, s4
	s_addc_u32 s5, s1, s5
	s_lshl_b64 s[0:1], s[2:3], 3
	s_add_u32 s14, s4, s0
	s_addc_u32 s15, s5, s1
.LBB52_2:
	s_lshl_b64 s[0:1], s[18:19], 4
	s_waitcnt lgkmcnt(0)
	s_add_u32 s2, s20, s0
	s_addc_u32 s3, s21, s1
	v_mov_b32_e32 v0, s2
	v_mov_b32_e32 v1, s3
	flat_load_dwordx2 v[2:3], v[0:1] offset:8
	s_mul_i32 s1, s10, s7
	s_mul_hi_u32 s4, s10, s6
	s_mul_i32 s5, s11, s6
	s_add_i32 s1, s4, s1
	s_mul_i32 s0, s10, s6
	s_add_i32 s1, s1, s5
	s_lshl_b64 s[0:1], s[0:1], 4
	s_add_u32 s4, s8, s0
	s_addc_u32 s5, s9, s1
	s_lshl_b64 s[0:1], s[6:7], 4
	s_add_u32 s6, s12, s0
	s_addc_u32 s7, s13, s1
	s_load_dwordx2 s[0:1], s[6:7], 0x0
	s_cmp_eq_u64 s[14:15], 0
	s_cselect_b64 s[10:11], -1, 0
	s_cmp_lg_u64 s[14:15], 0
	s_cselect_b64 s[8:9], -1, 0
	s_waitcnt lgkmcnt(0)
	v_max_f64 v[0:1], s[0:1], s[0:1]
	s_waitcnt vmcnt(0)
	v_mul_f64 v[4:5], v[2:3], v[2:3]
	v_max_f64 v[0:1], v[0:1], v[4:5]
	v_cmp_nlt_f64_e32 vcc, 0, v[0:1]
                                        ; implicit-def: $vgpr0_vgpr1
	s_and_saveexec_b64 s[12:13], vcc
	s_xor_b64 s[12:13], exec, s[12:13]
	s_cbranch_execnz .LBB52_7
; %bb.3:
	s_or_saveexec_b64 s[12:13], s[12:13]
	s_mov_b64 s[18:19], 0
	s_xor_b64 exec, exec, s[12:13]
	s_cbranch_execnz .LBB52_11
.LBB52_4:
	s_or_b64 exec, exec, s[12:13]
	s_and_saveexec_b64 s[0:1], s[16:17]
	s_cbranch_execnz .LBB52_12
.LBB52_5:
	s_or_b64 exec, exec, s[0:1]
	s_and_saveexec_b64 s[0:1], s[18:19]
	s_cbranch_execnz .LBB52_13
.LBB52_6:
	s_endpgm
.LBB52_7:
	v_mov_b32_e32 v0, 0
	v_mov_b32_e32 v1, 0x3ff00000
	;; [unrolled: 1-line block ×4, first 2 shown]
	global_store_dwordx4 v0, v[0:3], s[6:7]
	s_and_b64 vcc, exec, s[8:9]
	v_mov_b32_e32 v1, v0
	global_store_dwordx4 v0, v[0:3], s[4:5]
	s_cbranch_vccz .LBB52_9
; %bb.8:
	v_mov_b32_e32 v0, s2
	v_mov_b32_e32 v1, s3
	flat_load_dwordx2 v[0:1], v[0:1]
	s_mov_b64 s[16:17], -1
	s_branch .LBB52_10
.LBB52_9:
                                        ; implicit-def: $vgpr0_vgpr1
.LBB52_10:
	s_and_b64 s[16:17], s[16:17], exec
                                        ; implicit-def: $vgpr4_vgpr5
                                        ; implicit-def: $vgpr2_vgpr3
	s_or_saveexec_b64 s[12:13], s[12:13]
	s_mov_b64 s[18:19], 0
	s_xor_b64 exec, exec, s[12:13]
	s_cbranch_execz .LBB52_4
.LBB52_11:
	s_waitcnt vmcnt(0) lgkmcnt(0)
	v_mov_b32_e32 v0, s2
	v_mov_b32_e32 v1, s3
	flat_load_dwordx2 v[6:7], v[0:1]
	v_mov_b32_e32 v8, 0x100
	s_and_b64 s[8:9], s[8:9], exec
	s_waitcnt vmcnt(0) lgkmcnt(0)
	v_fma_f64 v[0:1], v[6:7], v[6:7], v[4:5]
	v_add_f64 v[0:1], s[0:1], v[0:1]
	s_mov_b32 s0, 0
	s_brev_b32 s1, 8
	v_cmp_gt_f64_e32 vcc, s[0:1], v[0:1]
	v_cndmask_b32_e32 v8, 0, v8, vcc
	v_ldexp_f64 v[0:1], v[0:1], v8
	v_rsq_f64_e32 v[8:9], v[0:1]
	v_mul_f64 v[10:11], v[0:1], v[8:9]
	v_mul_f64 v[8:9], v[8:9], 0.5
	v_fma_f64 v[12:13], -v[8:9], v[10:11], 0.5
	v_fma_f64 v[10:11], v[10:11], v[12:13], v[10:11]
	v_fma_f64 v[8:9], v[8:9], v[12:13], v[8:9]
	v_fma_f64 v[12:13], -v[10:11], v[10:11], v[0:1]
	v_fma_f64 v[10:11], v[12:13], v[8:9], v[10:11]
	v_fma_f64 v[12:13], -v[10:11], v[10:11], v[0:1]
	v_fma_f64 v[8:9], v[12:13], v[8:9], v[10:11]
	v_mov_b32_e32 v10, 0xffffff80
	v_mov_b32_e32 v11, 0x260
	v_cndmask_b32_e32 v10, 0, v10, vcc
	v_cmp_class_f64_e32 vcc, v[0:1], v11
	v_ldexp_f64 v[8:9], v[8:9], v10
	v_cndmask_b32_e32 v1, v9, v1, vcc
	v_cndmask_b32_e32 v0, v8, v0, vcc
	v_cmp_le_f64_e32 vcc, 0, v[6:7]
	v_xor_b32_e32 v8, 0x80000000, v1
	v_cndmask_b32_e32 v1, v1, v8, vcc
	v_add_f64 v[8:9], v[6:7], -v[0:1]
	v_add_f64 v[22:23], v[0:1], -v[6:7]
	v_fma_f64 v[10:11], v[8:9], v[8:9], v[4:5]
	v_div_scale_f64 v[6:7], s[18:19], v[0:1], v[0:1], v[22:23]
	s_and_b64 s[18:19], s[10:11], exec
	v_div_scale_f64 v[4:5], s[0:1], v[10:11], v[10:11], v[8:9]
	v_div_scale_f64 v[12:13], s[0:1], v[10:11], v[10:11], -v[2:3]
	v_rcp_f64_e32 v[14:15], v[4:5]
	v_rcp_f64_e32 v[16:17], v[12:13]
	v_fma_f64 v[18:19], -v[4:5], v[14:15], 1.0
	v_fma_f64 v[20:21], -v[12:13], v[16:17], 1.0
	v_fma_f64 v[14:15], v[14:15], v[18:19], v[14:15]
	v_fma_f64 v[16:17], v[16:17], v[20:21], v[16:17]
	v_div_scale_f64 v[20:21], vcc, v[8:9], v[10:11], v[8:9]
	v_fma_f64 v[18:19], -v[4:5], v[14:15], 1.0
	v_fma_f64 v[14:15], v[14:15], v[18:19], v[14:15]
	v_fma_f64 v[18:19], -v[12:13], v[16:17], 1.0
	v_fma_f64 v[16:17], v[16:17], v[18:19], v[16:17]
	v_mul_f64 v[18:19], v[20:21], v[14:15]
	v_fma_f64 v[4:5], -v[4:5], v[18:19], v[20:21]
	v_div_scale_f64 v[20:21], s[0:1], -v[2:3], v[10:11], -v[2:3]
	v_div_fmas_f64 v[4:5], v[4:5], v[14:15], v[18:19]
	v_rcp_f64_e32 v[18:19], v[6:7]
	s_mov_b64 vcc, s[0:1]
	v_mul_f64 v[14:15], v[20:21], v[16:17]
	v_div_fixup_f64 v[4:5], v[4:5], v[10:11], v[8:9]
	v_fma_f64 v[12:13], -v[12:13], v[14:15], v[20:21]
	v_fma_f64 v[20:21], -v[6:7], v[18:19], 1.0
	v_div_fmas_f64 v[12:13], v[12:13], v[16:17], v[14:15]
	v_fma_f64 v[18:19], v[18:19], v[20:21], v[18:19]
	v_div_scale_f64 v[14:15], vcc, v[22:23], v[0:1], v[22:23]
	v_fma_f64 v[16:17], -v[6:7], v[18:19], 1.0
	v_fma_f64 v[16:17], v[18:19], v[16:17], v[18:19]
	v_mul_f64 v[18:19], v[14:15], v[16:17]
	v_fma_f64 v[6:7], -v[6:7], v[18:19], v[14:15]
	v_div_scale_f64 v[14:15], s[0:1], v[0:1], v[0:1], -v[2:3]
	s_andn2_b64 s[0:1], s[16:17], exec
	s_or_b64 s[16:17], s[0:1], s[8:9]
	v_div_fmas_f64 v[16:17], v[6:7], v[16:17], v[18:19]
	v_rcp_f64_e32 v[6:7], v[14:15]
	v_div_fixup_f64 v[8:9], v[16:17], v[0:1], v[22:23]
	v_fma_f64 v[18:19], -v[14:15], v[6:7], 1.0
	v_fma_f64 v[6:7], v[6:7], v[18:19], v[6:7]
	v_fma_f64 v[18:19], -v[14:15], v[6:7], 1.0
	v_fma_f64 v[6:7], v[6:7], v[18:19], v[6:7]
	v_div_scale_f64 v[18:19], vcc, -v[2:3], v[0:1], -v[2:3]
	v_mul_f64 v[20:21], v[18:19], v[6:7]
	v_fma_f64 v[14:15], -v[14:15], v[20:21], v[18:19]
	s_nop 1
	v_div_fmas_f64 v[14:15], v[14:15], v[6:7], v[20:21]
	v_div_fixup_f64 v[6:7], v[12:13], v[10:11], -v[2:3]
	v_div_fixup_f64 v[10:11], v[14:15], v[0:1], -v[2:3]
	v_mov_b32_e32 v2, 0
	global_store_dwordx4 v2, v[4:7], s[6:7]
	global_store_dwordx4 v2, v[8:11], s[4:5]
	s_or_b64 exec, exec, s[12:13]
	s_and_saveexec_b64 s[0:1], s[16:17]
	s_cbranch_execz .LBB52_5
.LBB52_12:
	v_mov_b32_e32 v2, 0
	s_waitcnt vmcnt(0) lgkmcnt(0)
	global_store_dwordx2 v2, v[0:1], s[14:15]
	v_mov_b32_e32 v0, 0
	v_mov_b32_e32 v1, 0x3ff00000
	s_or_b64 s[18:19], s[18:19], exec
	s_or_b64 exec, exec, s[0:1]
	s_and_saveexec_b64 s[0:1], s[18:19]
	s_cbranch_execz .LBB52_6
.LBB52_13:
	v_mov_b32_e32 v2, 0
	v_mov_b32_e32 v5, s3
	;; [unrolled: 1-line block ×4, first 2 shown]
	s_waitcnt vmcnt(0) lgkmcnt(0)
	flat_store_dwordx4 v[4:5], v[0:3]
	s_endpgm
	.section	.rodata,"a",@progbits
	.p2align	6, 0x0
	.amdhsa_kernel _ZN9rocsolver6v33100L11set_taubetaI19rocblas_complex_numIdEidPKPS3_EEvPT_lS8_T2_llPT1_ll
		.amdhsa_group_segment_fixed_size 0
		.amdhsa_private_segment_fixed_size 0
		.amdhsa_kernarg_size 72
		.amdhsa_user_sgpr_count 6
		.amdhsa_user_sgpr_private_segment_buffer 1
		.amdhsa_user_sgpr_dispatch_ptr 0
		.amdhsa_user_sgpr_queue_ptr 0
		.amdhsa_user_sgpr_kernarg_segment_ptr 1
		.amdhsa_user_sgpr_dispatch_id 0
		.amdhsa_user_sgpr_flat_scratch_init 0
		.amdhsa_user_sgpr_private_segment_size 0
		.amdhsa_uses_dynamic_stack 0
		.amdhsa_system_sgpr_private_segment_wavefront_offset 0
		.amdhsa_system_sgpr_workgroup_id_x 1
		.amdhsa_system_sgpr_workgroup_id_y 0
		.amdhsa_system_sgpr_workgroup_id_z 0
		.amdhsa_system_sgpr_workgroup_info 0
		.amdhsa_system_vgpr_workitem_id 0
		.amdhsa_next_free_vgpr 24
		.amdhsa_next_free_sgpr 22
		.amdhsa_reserve_vcc 1
		.amdhsa_reserve_flat_scratch 0
		.amdhsa_float_round_mode_32 0
		.amdhsa_float_round_mode_16_64 0
		.amdhsa_float_denorm_mode_32 3
		.amdhsa_float_denorm_mode_16_64 3
		.amdhsa_dx10_clamp 1
		.amdhsa_ieee_mode 1
		.amdhsa_fp16_overflow 0
		.amdhsa_exception_fp_ieee_invalid_op 0
		.amdhsa_exception_fp_denorm_src 0
		.amdhsa_exception_fp_ieee_div_zero 0
		.amdhsa_exception_fp_ieee_overflow 0
		.amdhsa_exception_fp_ieee_underflow 0
		.amdhsa_exception_fp_ieee_inexact 0
		.amdhsa_exception_int_div_zero 0
	.end_amdhsa_kernel
	.section	.text._ZN9rocsolver6v33100L11set_taubetaI19rocblas_complex_numIdEidPKPS3_EEvPT_lS8_T2_llPT1_ll,"axG",@progbits,_ZN9rocsolver6v33100L11set_taubetaI19rocblas_complex_numIdEidPKPS3_EEvPT_lS8_T2_llPT1_ll,comdat
.Lfunc_end52:
	.size	_ZN9rocsolver6v33100L11set_taubetaI19rocblas_complex_numIdEidPKPS3_EEvPT_lS8_T2_llPT1_ll, .Lfunc_end52-_ZN9rocsolver6v33100L11set_taubetaI19rocblas_complex_numIdEidPKPS3_EEvPT_lS8_T2_llPT1_ll
                                        ; -- End function
	.set _ZN9rocsolver6v33100L11set_taubetaI19rocblas_complex_numIdEidPKPS3_EEvPT_lS8_T2_llPT1_ll.num_vgpr, 24
	.set _ZN9rocsolver6v33100L11set_taubetaI19rocblas_complex_numIdEidPKPS3_EEvPT_lS8_T2_llPT1_ll.num_agpr, 0
	.set _ZN9rocsolver6v33100L11set_taubetaI19rocblas_complex_numIdEidPKPS3_EEvPT_lS8_T2_llPT1_ll.numbered_sgpr, 22
	.set _ZN9rocsolver6v33100L11set_taubetaI19rocblas_complex_numIdEidPKPS3_EEvPT_lS8_T2_llPT1_ll.num_named_barrier, 0
	.set _ZN9rocsolver6v33100L11set_taubetaI19rocblas_complex_numIdEidPKPS3_EEvPT_lS8_T2_llPT1_ll.private_seg_size, 0
	.set _ZN9rocsolver6v33100L11set_taubetaI19rocblas_complex_numIdEidPKPS3_EEvPT_lS8_T2_llPT1_ll.uses_vcc, 1
	.set _ZN9rocsolver6v33100L11set_taubetaI19rocblas_complex_numIdEidPKPS3_EEvPT_lS8_T2_llPT1_ll.uses_flat_scratch, 0
	.set _ZN9rocsolver6v33100L11set_taubetaI19rocblas_complex_numIdEidPKPS3_EEvPT_lS8_T2_llPT1_ll.has_dyn_sized_stack, 0
	.set _ZN9rocsolver6v33100L11set_taubetaI19rocblas_complex_numIdEidPKPS3_EEvPT_lS8_T2_llPT1_ll.has_recursion, 0
	.set _ZN9rocsolver6v33100L11set_taubetaI19rocblas_complex_numIdEidPKPS3_EEvPT_lS8_T2_llPT1_ll.has_indirect_call, 0
	.section	.AMDGPU.csdata,"",@progbits
; Kernel info:
; codeLenInByte = 1112
; TotalNumSgprs: 26
; NumVgprs: 24
; ScratchSize: 0
; MemoryBound: 0
; FloatMode: 240
; IeeeMode: 1
; LDSByteSize: 0 bytes/workgroup (compile time only)
; SGPRBlocks: 3
; VGPRBlocks: 5
; NumSGPRsForWavesPerEU: 26
; NumVGPRsForWavesPerEU: 24
; Occupancy: 10
; WaveLimiterHint : 1
; COMPUTE_PGM_RSRC2:SCRATCH_EN: 0
; COMPUTE_PGM_RSRC2:USER_SGPR: 6
; COMPUTE_PGM_RSRC2:TRAP_HANDLER: 0
; COMPUTE_PGM_RSRC2:TGID_X_EN: 1
; COMPUTE_PGM_RSRC2:TGID_Y_EN: 0
; COMPUTE_PGM_RSRC2:TGID_Z_EN: 0
; COMPUTE_PGM_RSRC2:TIDIG_COMP_CNT: 0
	.section	.text._ZN9rocsolver6v33100L13conj_in_placeI19rocblas_complex_numIdEiPS3_TnNSt9enable_ifIX18rocblas_is_complexIT_EEiE4typeELi0EEEvT0_S9_T1_lS9_l,"axG",@progbits,_ZN9rocsolver6v33100L13conj_in_placeI19rocblas_complex_numIdEiPS3_TnNSt9enable_ifIX18rocblas_is_complexIT_EEiE4typeELi0EEEvT0_S9_T1_lS9_l,comdat
	.globl	_ZN9rocsolver6v33100L13conj_in_placeI19rocblas_complex_numIdEiPS3_TnNSt9enable_ifIX18rocblas_is_complexIT_EEiE4typeELi0EEEvT0_S9_T1_lS9_l ; -- Begin function _ZN9rocsolver6v33100L13conj_in_placeI19rocblas_complex_numIdEiPS3_TnNSt9enable_ifIX18rocblas_is_complexIT_EEiE4typeELi0EEEvT0_S9_T1_lS9_l
	.p2align	8
	.type	_ZN9rocsolver6v33100L13conj_in_placeI19rocblas_complex_numIdEiPS3_TnNSt9enable_ifIX18rocblas_is_complexIT_EEiE4typeELi0EEEvT0_S9_T1_lS9_l,@function
_ZN9rocsolver6v33100L13conj_in_placeI19rocblas_complex_numIdEiPS3_TnNSt9enable_ifIX18rocblas_is_complexIT_EEiE4typeELi0EEEvT0_S9_T1_lS9_l: ; @_ZN9rocsolver6v33100L13conj_in_placeI19rocblas_complex_numIdEiPS3_TnNSt9enable_ifIX18rocblas_is_complexIT_EEiE4typeELi0EEEvT0_S9_T1_lS9_l
; %bb.0:
	s_load_dword s2, s[4:5], 0x34
	s_load_dwordx2 s[0:1], s[4:5], 0x0
	s_waitcnt lgkmcnt(0)
	s_lshr_b32 s3, s2, 16
	s_and_b32 s2, s2, 0xffff
	s_mul_i32 s6, s6, s2
	s_mul_i32 s7, s7, s3
	v_add_u32_e32 v0, s6, v0
	v_add_u32_e32 v1, s7, v1
	v_cmp_gt_i32_e32 vcc, s0, v0
	v_cmp_gt_i32_e64 s[0:1], s1, v1
	s_and_b64 s[0:1], vcc, s[0:1]
	s_and_saveexec_b64 s[2:3], s[0:1]
	s_cbranch_execz .LBB53_2
; %bb.1:
	s_load_dwordx2 s[6:7], s[4:5], 0x20
	s_load_dwordx4 s[0:3], s[4:5], 0x8
	s_load_dword s9, s[4:5], 0x18
	s_ashr_i32 s4, s8, 31
	s_waitcnt lgkmcnt(0)
	s_mul_hi_u32 s5, s6, s8
	s_mul_i32 s4, s6, s4
	s_add_i32 s4, s5, s4
	s_mul_i32 s5, s7, s8
	s_add_i32 s5, s4, s5
	s_mul_i32 s4, s6, s8
	s_lshl_b64 s[4:5], s[4:5], 4
	s_add_u32 s4, s0, s4
	s_addc_u32 s5, s1, s5
	s_lshl_b64 s[0:1], s[2:3], 4
	v_mad_i64_i32 v[5:6], s[2:3], v1, s9, 0
	s_add_u32 s0, s4, s0
	s_addc_u32 s1, s5, s1
	v_lshlrev_b64 v[2:3], 4, v[5:6]
	v_ashrrev_i32_e32 v1, 31, v0
	v_mov_b32_e32 v4, s1
	v_add_co_u32_e32 v6, vcc, s0, v2
	v_lshlrev_b64 v[1:2], 4, v[0:1]
	v_addc_co_u32_e32 v3, vcc, v4, v3, vcc
	v_add_co_u32_e32 v1, vcc, v6, v1
	v_addc_co_u32_e32 v2, vcc, v3, v2, vcc
	global_load_dwordx4 v[1:4], v[1:2], off
	v_add_u32_e32 v5, v5, v0
	v_ashrrev_i32_e32 v6, 31, v5
	v_lshlrev_b64 v[5:6], 4, v[5:6]
	v_mov_b32_e32 v0, s1
	v_add_co_u32_e32 v5, vcc, s0, v5
	v_addc_co_u32_e32 v6, vcc, v0, v6, vcc
	s_waitcnt vmcnt(0)
	v_xor_b32_e32 v4, 0x80000000, v4
	global_store_dwordx4 v[5:6], v[1:4], off
.LBB53_2:
	s_endpgm
	.section	.rodata,"a",@progbits
	.p2align	6, 0x0
	.amdhsa_kernel _ZN9rocsolver6v33100L13conj_in_placeI19rocblas_complex_numIdEiPS3_TnNSt9enable_ifIX18rocblas_is_complexIT_EEiE4typeELi0EEEvT0_S9_T1_lS9_l
		.amdhsa_group_segment_fixed_size 0
		.amdhsa_private_segment_fixed_size 0
		.amdhsa_kernarg_size 296
		.amdhsa_user_sgpr_count 6
		.amdhsa_user_sgpr_private_segment_buffer 1
		.amdhsa_user_sgpr_dispatch_ptr 0
		.amdhsa_user_sgpr_queue_ptr 0
		.amdhsa_user_sgpr_kernarg_segment_ptr 1
		.amdhsa_user_sgpr_dispatch_id 0
		.amdhsa_user_sgpr_flat_scratch_init 0
		.amdhsa_user_sgpr_private_segment_size 0
		.amdhsa_uses_dynamic_stack 0
		.amdhsa_system_sgpr_private_segment_wavefront_offset 0
		.amdhsa_system_sgpr_workgroup_id_x 1
		.amdhsa_system_sgpr_workgroup_id_y 1
		.amdhsa_system_sgpr_workgroup_id_z 1
		.amdhsa_system_sgpr_workgroup_info 0
		.amdhsa_system_vgpr_workitem_id 1
		.amdhsa_next_free_vgpr 7
		.amdhsa_next_free_sgpr 10
		.amdhsa_reserve_vcc 1
		.amdhsa_reserve_flat_scratch 0
		.amdhsa_float_round_mode_32 0
		.amdhsa_float_round_mode_16_64 0
		.amdhsa_float_denorm_mode_32 3
		.amdhsa_float_denorm_mode_16_64 3
		.amdhsa_dx10_clamp 1
		.amdhsa_ieee_mode 1
		.amdhsa_fp16_overflow 0
		.amdhsa_exception_fp_ieee_invalid_op 0
		.amdhsa_exception_fp_denorm_src 0
		.amdhsa_exception_fp_ieee_div_zero 0
		.amdhsa_exception_fp_ieee_overflow 0
		.amdhsa_exception_fp_ieee_underflow 0
		.amdhsa_exception_fp_ieee_inexact 0
		.amdhsa_exception_int_div_zero 0
	.end_amdhsa_kernel
	.section	.text._ZN9rocsolver6v33100L13conj_in_placeI19rocblas_complex_numIdEiPS3_TnNSt9enable_ifIX18rocblas_is_complexIT_EEiE4typeELi0EEEvT0_S9_T1_lS9_l,"axG",@progbits,_ZN9rocsolver6v33100L13conj_in_placeI19rocblas_complex_numIdEiPS3_TnNSt9enable_ifIX18rocblas_is_complexIT_EEiE4typeELi0EEEvT0_S9_T1_lS9_l,comdat
.Lfunc_end53:
	.size	_ZN9rocsolver6v33100L13conj_in_placeI19rocblas_complex_numIdEiPS3_TnNSt9enable_ifIX18rocblas_is_complexIT_EEiE4typeELi0EEEvT0_S9_T1_lS9_l, .Lfunc_end53-_ZN9rocsolver6v33100L13conj_in_placeI19rocblas_complex_numIdEiPS3_TnNSt9enable_ifIX18rocblas_is_complexIT_EEiE4typeELi0EEEvT0_S9_T1_lS9_l
                                        ; -- End function
	.set _ZN9rocsolver6v33100L13conj_in_placeI19rocblas_complex_numIdEiPS3_TnNSt9enable_ifIX18rocblas_is_complexIT_EEiE4typeELi0EEEvT0_S9_T1_lS9_l.num_vgpr, 7
	.set _ZN9rocsolver6v33100L13conj_in_placeI19rocblas_complex_numIdEiPS3_TnNSt9enable_ifIX18rocblas_is_complexIT_EEiE4typeELi0EEEvT0_S9_T1_lS9_l.num_agpr, 0
	.set _ZN9rocsolver6v33100L13conj_in_placeI19rocblas_complex_numIdEiPS3_TnNSt9enable_ifIX18rocblas_is_complexIT_EEiE4typeELi0EEEvT0_S9_T1_lS9_l.numbered_sgpr, 10
	.set _ZN9rocsolver6v33100L13conj_in_placeI19rocblas_complex_numIdEiPS3_TnNSt9enable_ifIX18rocblas_is_complexIT_EEiE4typeELi0EEEvT0_S9_T1_lS9_l.num_named_barrier, 0
	.set _ZN9rocsolver6v33100L13conj_in_placeI19rocblas_complex_numIdEiPS3_TnNSt9enable_ifIX18rocblas_is_complexIT_EEiE4typeELi0EEEvT0_S9_T1_lS9_l.private_seg_size, 0
	.set _ZN9rocsolver6v33100L13conj_in_placeI19rocblas_complex_numIdEiPS3_TnNSt9enable_ifIX18rocblas_is_complexIT_EEiE4typeELi0EEEvT0_S9_T1_lS9_l.uses_vcc, 1
	.set _ZN9rocsolver6v33100L13conj_in_placeI19rocblas_complex_numIdEiPS3_TnNSt9enable_ifIX18rocblas_is_complexIT_EEiE4typeELi0EEEvT0_S9_T1_lS9_l.uses_flat_scratch, 0
	.set _ZN9rocsolver6v33100L13conj_in_placeI19rocblas_complex_numIdEiPS3_TnNSt9enable_ifIX18rocblas_is_complexIT_EEiE4typeELi0EEEvT0_S9_T1_lS9_l.has_dyn_sized_stack, 0
	.set _ZN9rocsolver6v33100L13conj_in_placeI19rocblas_complex_numIdEiPS3_TnNSt9enable_ifIX18rocblas_is_complexIT_EEiE4typeELi0EEEvT0_S9_T1_lS9_l.has_recursion, 0
	.set _ZN9rocsolver6v33100L13conj_in_placeI19rocblas_complex_numIdEiPS3_TnNSt9enable_ifIX18rocblas_is_complexIT_EEiE4typeELi0EEEvT0_S9_T1_lS9_l.has_indirect_call, 0
	.section	.AMDGPU.csdata,"",@progbits
; Kernel info:
; codeLenInByte = 260
; TotalNumSgprs: 14
; NumVgprs: 7
; ScratchSize: 0
; MemoryBound: 0
; FloatMode: 240
; IeeeMode: 1
; LDSByteSize: 0 bytes/workgroup (compile time only)
; SGPRBlocks: 1
; VGPRBlocks: 1
; NumSGPRsForWavesPerEU: 14
; NumVGPRsForWavesPerEU: 7
; Occupancy: 10
; WaveLimiterHint : 0
; COMPUTE_PGM_RSRC2:SCRATCH_EN: 0
; COMPUTE_PGM_RSRC2:USER_SGPR: 6
; COMPUTE_PGM_RSRC2:TRAP_HANDLER: 0
; COMPUTE_PGM_RSRC2:TGID_X_EN: 1
; COMPUTE_PGM_RSRC2:TGID_Y_EN: 1
; COMPUTE_PGM_RSRC2:TGID_Z_EN: 1
; COMPUTE_PGM_RSRC2:TIDIG_COMP_CNT: 1
	.section	.text._ZN9rocsolver6v33100L16larf_left_kernelILi1024E19rocblas_complex_numIdEiPKPS3_EEvT1_S7_T2_lS7_lPKT0_lS8_lS7_l,"axG",@progbits,_ZN9rocsolver6v33100L16larf_left_kernelILi1024E19rocblas_complex_numIdEiPKPS3_EEvT1_S7_T2_lS7_lPKT0_lS8_lS7_l,comdat
	.globl	_ZN9rocsolver6v33100L16larf_left_kernelILi1024E19rocblas_complex_numIdEiPKPS3_EEvT1_S7_T2_lS7_lPKT0_lS8_lS7_l ; -- Begin function _ZN9rocsolver6v33100L16larf_left_kernelILi1024E19rocblas_complex_numIdEiPKPS3_EEvT1_S7_T2_lS7_lPKT0_lS8_lS7_l
	.p2align	8
	.type	_ZN9rocsolver6v33100L16larf_left_kernelILi1024E19rocblas_complex_numIdEiPKPS3_EEvT1_S7_T2_lS7_lPKT0_lS8_lS7_l,@function
_ZN9rocsolver6v33100L16larf_left_kernelILi1024E19rocblas_complex_numIdEiPKPS3_EEvT1_S7_T2_lS7_lPKT0_lS8_lS7_l: ; @_ZN9rocsolver6v33100L16larf_left_kernelILi1024E19rocblas_complex_numIdEiPKPS3_EEvT1_S7_T2_lS7_lPKT0_lS8_lS7_l
; %bb.0:
	s_load_dwordx8 s[12:19], s[4:5], 0x28
	s_load_dword s20, s[4:5], 0x0
	s_load_dword s6, s[4:5], 0x48
	s_ashr_i32 s9, s8, 31
	s_lshl_b64 s[2:3], s[8:9], 3
	s_waitcnt lgkmcnt(0)
	s_add_u32 s0, s16, s2
	s_addc_u32 s1, s17, s3
	s_load_dwordx2 s[10:11], s[0:1], 0x0
	v_mov_b32_e32 v1, 0
	v_mov_b32_e32 v3, 0
	v_cmp_gt_i32_e64 s[0:1], s20, v0
	v_mov_b32_e32 v2, 0
	s_mul_hi_i32 s17, s7, s6
	v_mov_b32_e32 v4, 0
	s_mul_i32 s16, s7, s6
	s_and_saveexec_b64 s[6:7], s[0:1]
	s_cbranch_execz .LBB54_6
; %bb.1:
	s_load_dword s22, s[4:5], 0x18
	s_load_dwordx4 s[24:27], s[4:5], 0x8
	s_sub_i32 s4, 1, s20
	v_lshl_add_u32 v3, v0, 4, 0
	v_add_u32_e32 v7, 0x100, v3
	s_waitcnt lgkmcnt(0)
	s_ashr_i32 s23, s22, 31
	s_mul_i32 s21, s22, s4
	v_cmp_lt_i64_e64 s[4:5], s[22:23], 1
	v_mad_i64_i32 v[1:2], s[28:29], s22, v0, 0
	s_and_b64 s[4:5], s[4:5], exec
	s_cselect_b32 s4, s21, 0
	s_ashr_i32 s5, s4, 31
	s_add_u32 s2, s24, s2
	s_addc_u32 s3, s25, s3
	s_load_dwordx2 s[2:3], s[2:3], 0x0
	s_lshl_b64 s[24:25], s[26:27], 4
	s_lshl_b64 s[4:5], s[4:5], 4
	v_lshlrev_b64 v[1:2], 4, v[1:2]
	v_mov_b32_e32 v4, v7
	s_waitcnt lgkmcnt(0)
	s_add_u32 s2, s2, s4
	s_addc_u32 s3, s3, s5
	s_add_u32 s2, s2, s24
	s_addc_u32 s3, s3, s25
	v_mov_b32_e32 v3, s3
	v_add_co_u32_e32 v1, vcc, s2, v1
	s_lshl_b64 s[4:5], s[22:23], 14
	v_addc_co_u32_e32 v2, vcc, v3, v2, vcc
	s_mov_b64 s[2:3], 0
	v_mov_b32_e32 v3, s5
	v_mov_b32_e32 v5, v0
.LBB54_2:                               ; =>This Inner Loop Header: Depth=1
	flat_load_dwordx4 v[8:11], v[1:2]
	v_add_co_u32_e32 v1, vcc, s4, v1
	v_add_u32_e32 v5, 0x400, v5
	v_addc_co_u32_e32 v2, vcc, v2, v3, vcc
	v_cmp_le_i32_e32 vcc, s20, v5
	s_or_b64 s[2:3], vcc, s[2:3]
	s_waitcnt vmcnt(0) lgkmcnt(0)
	ds_write2_b64 v4, v[8:9], v[10:11] offset1:1
	v_add_u32_e32 v4, 0x4000, v4
	s_andn2_b64 exec, exec, s[2:3]
	s_cbranch_execnz .LBB54_2
; %bb.3:
	s_or_b64 exec, exec, s[2:3]
	s_lshl_b64 s[2:3], s[16:17], 4
	s_lshl_b64 s[4:5], s[18:19], 4
	s_add_u32 s2, s2, s4
	s_addc_u32 s3, s3, s5
	s_add_u32 s2, s10, s2
	v_lshlrev_b32_e32 v1, 4, v0
	s_addc_u32 s3, s11, s3
	v_mov_b32_e32 v2, s3
	v_add_co_u32_e32 v5, vcc, s2, v1
	v_addc_co_u32_e32 v6, vcc, 0, v2, vcc
	v_mov_b32_e32 v1, 0
	v_mov_b32_e32 v3, 0
	;; [unrolled: 1-line block ×3, first 2 shown]
	s_mov_b64 s[4:5], 0
	v_mov_b32_e32 v4, 0
	v_mov_b32_e32 v8, v0
.LBB54_4:                               ; =>This Inner Loop Header: Depth=1
	flat_load_dwordx4 v[9:12], v[5:6]
	ds_read2_b64 v[13:16], v7 offset1:1
	v_add_u32_e32 v8, 0x400, v8
	v_add_co_u32_e32 v5, vcc, 0x4000, v5
	v_cmp_le_i32_e64 s[2:3], s20, v8
	v_add_u32_e32 v7, 0x4000, v7
	s_or_b64 s[4:5], s[2:3], s[4:5]
	v_addc_co_u32_e32 v6, vcc, 0, v6, vcc
	s_waitcnt vmcnt(0) lgkmcnt(0)
	v_mul_f64 v[17:18], v[11:12], v[15:16]
	v_mul_f64 v[11:12], v[11:12], v[13:14]
	v_fma_f64 v[13:14], v[9:10], v[13:14], v[17:18]
	v_fma_f64 v[9:10], v[9:10], v[15:16], -v[11:12]
	v_add_f64 v[3:4], v[3:4], v[13:14]
	v_add_f64 v[1:2], v[1:2], v[9:10]
	s_andn2_b64 exec, exec, s[4:5]
	s_cbranch_execnz .LBB54_4
; %bb.5:
	s_or_b64 exec, exec, s[4:5]
.LBB54_6:
	s_or_b64 exec, exec, s[6:7]
	v_mbcnt_lo_u32_b32 v5, -1, 0
	v_mbcnt_hi_u32_b32 v9, -1, v5
	v_and_b32_e32 v10, 63, v9
	v_cmp_ne_u32_e32 vcc, 63, v10
	v_addc_co_u32_e32 v5, vcc, 0, v9, vcc
	v_lshlrev_b32_e32 v8, 2, v5
	ds_bpermute_b32 v5, v8, v3
	ds_bpermute_b32 v6, v8, v4
	;; [unrolled: 1-line block ×4, first 2 shown]
	v_cmp_gt_u32_e32 vcc, 62, v10
	s_waitcnt lgkmcnt(0)
	v_add_f64 v[3:4], v[3:4], v[5:6]
	v_cndmask_b32_e64 v5, 0, 2, vcc
	v_add_f64 v[1:2], v[1:2], v[7:8]
	v_add_lshl_u32 v8, v5, v9, 2
	v_cmp_gt_u32_e32 vcc, 60, v10
	ds_bpermute_b32 v5, v8, v3
	ds_bpermute_b32 v6, v8, v4
	ds_bpermute_b32 v7, v8, v1
	ds_bpermute_b32 v8, v8, v2
	s_waitcnt lgkmcnt(2)
	v_add_f64 v[3:4], v[3:4], v[5:6]
	v_cndmask_b32_e64 v5, 0, 4, vcc
	s_waitcnt lgkmcnt(0)
	v_add_f64 v[1:2], v[1:2], v[7:8]
	v_add_lshl_u32 v8, v5, v9, 2
	v_cmp_gt_u32_e32 vcc, 56, v10
	ds_bpermute_b32 v5, v8, v3
	ds_bpermute_b32 v6, v8, v4
	ds_bpermute_b32 v7, v8, v1
	ds_bpermute_b32 v8, v8, v2
	s_waitcnt lgkmcnt(2)
	v_add_f64 v[3:4], v[3:4], v[5:6]
	v_cndmask_b32_e64 v5, 0, 8, vcc
	s_waitcnt lgkmcnt(0)
	v_add_f64 v[1:2], v[1:2], v[7:8]
	v_add_lshl_u32 v8, v5, v9, 2
	v_cmp_gt_u32_e32 vcc, 48, v10
	ds_bpermute_b32 v5, v8, v3
	ds_bpermute_b32 v6, v8, v4
	ds_bpermute_b32 v7, v8, v1
	ds_bpermute_b32 v8, v8, v2
	s_waitcnt lgkmcnt(2)
	v_add_f64 v[3:4], v[3:4], v[5:6]
	v_cndmask_b32_e64 v5, 0, 16, vcc
	s_waitcnt lgkmcnt(0)
	v_add_f64 v[1:2], v[1:2], v[7:8]
	v_add_lshl_u32 v8, v5, v9, 2
	ds_bpermute_b32 v5, v8, v3
	ds_bpermute_b32 v6, v8, v4
	;; [unrolled: 1-line block ×4, first 2 shown]
	s_waitcnt lgkmcnt(2)
	v_add_f64 v[3:4], v[3:4], v[5:6]
	s_waitcnt lgkmcnt(0)
	v_add_f64 v[5:6], v[1:2], v[7:8]
	v_mov_b32_e32 v1, 0x80
	v_lshl_or_b32 v8, v9, 2, v1
	ds_bpermute_b32 v1, v8, v3
	ds_bpermute_b32 v2, v8, v4
	;; [unrolled: 1-line block ×4, first 2 shown]
	s_waitcnt lgkmcnt(2)
	v_add_f64 v[1:2], v[3:4], v[1:2]
	s_waitcnt lgkmcnt(0)
	v_add_f64 v[3:4], v[5:6], v[7:8]
	v_and_b32_e32 v5, 63, v0
	v_cmp_eq_u32_e32 vcc, 0, v5
	s_and_saveexec_b64 s[2:3], vcc
; %bb.7:
	v_lshrrev_b32_e32 v5, 2, v0
	v_add_u32_e32 v5, 0, v5
	ds_write2_b64 v5, v[1:2], v[3:4] offset1:1
; %bb.8:
	s_or_b64 exec, exec, s[2:3]
	v_cmp_eq_u32_e32 vcc, 0, v0
	s_waitcnt lgkmcnt(0)
	s_barrier
	s_and_saveexec_b64 s[2:3], vcc
	s_cbranch_execz .LBB54_10
; %bb.9:
	v_mov_b32_e32 v13, 0
	ds_read2_b64 v[5:8], v13 offset0:2 offset1:3
	ds_read2_b64 v[9:12], v13 offset0:4 offset1:5
	s_waitcnt lgkmcnt(1)
	v_add_f64 v[1:2], v[1:2], v[5:6]
	v_add_f64 v[3:4], v[3:4], v[7:8]
	s_waitcnt lgkmcnt(0)
	v_add_f64 v[9:10], v[1:2], v[9:10]
	v_add_f64 v[11:12], v[3:4], v[11:12]
	ds_read2_b64 v[1:4], v13 offset0:6 offset1:7
	ds_read2_b64 v[5:8], v13 offset0:8 offset1:9
	s_waitcnt lgkmcnt(1)
	v_add_f64 v[1:2], v[9:10], v[1:2]
	v_add_f64 v[3:4], v[11:12], v[3:4]
	s_waitcnt lgkmcnt(0)
	v_add_f64 v[9:10], v[1:2], v[5:6]
	v_add_f64 v[11:12], v[3:4], v[7:8]
	;; [unrolled: 8-line block ×7, first 2 shown]
	ds_read2_b64 v[1:4], v13 offset0:30 offset1:31
	s_waitcnt lgkmcnt(0)
	v_add_f64 v[1:2], v[5:6], v[1:2]
	v_add_f64 v[3:4], v[7:8], v[3:4]
	ds_write2_b64 v13, v[1:2], v[3:4] offset1:1
.LBB54_10:
	s_or_b64 exec, exec, s[2:3]
	s_waitcnt lgkmcnt(0)
	s_barrier
	s_and_saveexec_b64 s[2:3], s[0:1]
	s_cbranch_execz .LBB54_13
; %bb.11:
	s_mul_i32 s0, s14, s9
	s_mul_hi_u32 s1, s14, s8
	s_add_i32 s0, s1, s0
	s_mul_i32 s1, s15, s8
	s_add_i32 s1, s0, s1
	s_mul_i32 s0, s14, s8
	s_lshl_b64 s[0:1], s[0:1], 4
	s_add_u32 s4, s12, s0
	s_addc_u32 s5, s13, s1
	v_mov_b32_e32 v1, 0
	s_load_dwordx4 s[0:3], s[4:5], 0x0
	ds_read2_b64 v[1:4], v1 offset1:1
	v_lshlrev_b32_e32 v10, 4, v0
	v_add_u32_e32 v7, 0, v10
	v_add_u32_e32 v7, 0x100, v7
	s_waitcnt lgkmcnt(0)
	v_mul_f64 v[5:6], s[2:3], v[3:4]
	v_mul_f64 v[8:9], s[2:3], v[1:2]
	s_lshl_b64 s[2:3], s[16:17], 4
	v_fma_f64 v[1:2], v[1:2], -s[0:1], -v[5:6]
	v_fma_f64 v[3:4], s[0:1], v[3:4], -v[8:9]
	s_lshl_b64 s[0:1], s[18:19], 4
	s_add_u32 s0, s2, s0
	s_addc_u32 s1, s3, s1
	s_add_u32 s0, s10, s0
	s_addc_u32 s1, s11, s1
	v_mov_b32_e32 v6, s1
	v_add_co_u32_e32 v5, vcc, s0, v10
	v_addc_co_u32_e32 v6, vcc, 0, v6, vcc
	s_mov_b64 s[0:1], 0
.LBB54_12:                              ; =>This Inner Loop Header: Depth=1
	flat_load_dwordx4 v[8:11], v[5:6]
	ds_read2_b64 v[12:15], v7 offset1:1
	v_add_u32_e32 v0, 0x400, v0
	v_cmp_le_i32_e32 vcc, s20, v0
	s_or_b64 s[0:1], vcc, s[0:1]
	v_add_u32_e32 v7, 0x4000, v7
	s_waitcnt lgkmcnt(0)
	v_mul_f64 v[16:17], v[3:4], v[14:15]
	v_mul_f64 v[14:15], v[1:2], v[14:15]
	v_fma_f64 v[16:17], v[1:2], v[12:13], -v[16:17]
	v_fma_f64 v[12:13], v[3:4], v[12:13], v[14:15]
	s_waitcnt vmcnt(0)
	v_add_f64 v[8:9], v[8:9], v[16:17]
	v_add_f64 v[10:11], v[12:13], v[10:11]
	flat_store_dwordx4 v[5:6], v[8:11]
	v_add_co_u32_e32 v5, vcc, 0x4000, v5
	v_addc_co_u32_e32 v6, vcc, 0, v6, vcc
	s_andn2_b64 exec, exec, s[0:1]
	s_cbranch_execnz .LBB54_12
.LBB54_13:
	s_endpgm
	.section	.rodata,"a",@progbits
	.p2align	6, 0x0
	.amdhsa_kernel _ZN9rocsolver6v33100L16larf_left_kernelILi1024E19rocblas_complex_numIdEiPKPS3_EEvT1_S7_T2_lS7_lPKT0_lS8_lS7_l
		.amdhsa_group_segment_fixed_size 0
		.amdhsa_private_segment_fixed_size 0
		.amdhsa_kernarg_size 88
		.amdhsa_user_sgpr_count 6
		.amdhsa_user_sgpr_private_segment_buffer 1
		.amdhsa_user_sgpr_dispatch_ptr 0
		.amdhsa_user_sgpr_queue_ptr 0
		.amdhsa_user_sgpr_kernarg_segment_ptr 1
		.amdhsa_user_sgpr_dispatch_id 0
		.amdhsa_user_sgpr_flat_scratch_init 0
		.amdhsa_user_sgpr_private_segment_size 0
		.amdhsa_uses_dynamic_stack 0
		.amdhsa_system_sgpr_private_segment_wavefront_offset 0
		.amdhsa_system_sgpr_workgroup_id_x 1
		.amdhsa_system_sgpr_workgroup_id_y 1
		.amdhsa_system_sgpr_workgroup_id_z 1
		.amdhsa_system_sgpr_workgroup_info 0
		.amdhsa_system_vgpr_workitem_id 0
		.amdhsa_next_free_vgpr 19
		.amdhsa_next_free_sgpr 30
		.amdhsa_reserve_vcc 1
		.amdhsa_reserve_flat_scratch 0
		.amdhsa_float_round_mode_32 0
		.amdhsa_float_round_mode_16_64 0
		.amdhsa_float_denorm_mode_32 3
		.amdhsa_float_denorm_mode_16_64 3
		.amdhsa_dx10_clamp 1
		.amdhsa_ieee_mode 1
		.amdhsa_fp16_overflow 0
		.amdhsa_exception_fp_ieee_invalid_op 0
		.amdhsa_exception_fp_denorm_src 0
		.amdhsa_exception_fp_ieee_div_zero 0
		.amdhsa_exception_fp_ieee_overflow 0
		.amdhsa_exception_fp_ieee_underflow 0
		.amdhsa_exception_fp_ieee_inexact 0
		.amdhsa_exception_int_div_zero 0
	.end_amdhsa_kernel
	.section	.text._ZN9rocsolver6v33100L16larf_left_kernelILi1024E19rocblas_complex_numIdEiPKPS3_EEvT1_S7_T2_lS7_lPKT0_lS8_lS7_l,"axG",@progbits,_ZN9rocsolver6v33100L16larf_left_kernelILi1024E19rocblas_complex_numIdEiPKPS3_EEvT1_S7_T2_lS7_lPKT0_lS8_lS7_l,comdat
.Lfunc_end54:
	.size	_ZN9rocsolver6v33100L16larf_left_kernelILi1024E19rocblas_complex_numIdEiPKPS3_EEvT1_S7_T2_lS7_lPKT0_lS8_lS7_l, .Lfunc_end54-_ZN9rocsolver6v33100L16larf_left_kernelILi1024E19rocblas_complex_numIdEiPKPS3_EEvT1_S7_T2_lS7_lPKT0_lS8_lS7_l
                                        ; -- End function
	.set _ZN9rocsolver6v33100L16larf_left_kernelILi1024E19rocblas_complex_numIdEiPKPS3_EEvT1_S7_T2_lS7_lPKT0_lS8_lS7_l.num_vgpr, 19
	.set _ZN9rocsolver6v33100L16larf_left_kernelILi1024E19rocblas_complex_numIdEiPKPS3_EEvT1_S7_T2_lS7_lPKT0_lS8_lS7_l.num_agpr, 0
	.set _ZN9rocsolver6v33100L16larf_left_kernelILi1024E19rocblas_complex_numIdEiPKPS3_EEvT1_S7_T2_lS7_lPKT0_lS8_lS7_l.numbered_sgpr, 30
	.set _ZN9rocsolver6v33100L16larf_left_kernelILi1024E19rocblas_complex_numIdEiPKPS3_EEvT1_S7_T2_lS7_lPKT0_lS8_lS7_l.num_named_barrier, 0
	.set _ZN9rocsolver6v33100L16larf_left_kernelILi1024E19rocblas_complex_numIdEiPKPS3_EEvT1_S7_T2_lS7_lPKT0_lS8_lS7_l.private_seg_size, 0
	.set _ZN9rocsolver6v33100L16larf_left_kernelILi1024E19rocblas_complex_numIdEiPKPS3_EEvT1_S7_T2_lS7_lPKT0_lS8_lS7_l.uses_vcc, 1
	.set _ZN9rocsolver6v33100L16larf_left_kernelILi1024E19rocblas_complex_numIdEiPKPS3_EEvT1_S7_T2_lS7_lPKT0_lS8_lS7_l.uses_flat_scratch, 0
	.set _ZN9rocsolver6v33100L16larf_left_kernelILi1024E19rocblas_complex_numIdEiPKPS3_EEvT1_S7_T2_lS7_lPKT0_lS8_lS7_l.has_dyn_sized_stack, 0
	.set _ZN9rocsolver6v33100L16larf_left_kernelILi1024E19rocblas_complex_numIdEiPKPS3_EEvT1_S7_T2_lS7_lPKT0_lS8_lS7_l.has_recursion, 0
	.set _ZN9rocsolver6v33100L16larf_left_kernelILi1024E19rocblas_complex_numIdEiPKPS3_EEvT1_S7_T2_lS7_lPKT0_lS8_lS7_l.has_indirect_call, 0
	.section	.AMDGPU.csdata,"",@progbits
; Kernel info:
; codeLenInByte = 1744
; TotalNumSgprs: 34
; NumVgprs: 19
; ScratchSize: 0
; MemoryBound: 0
; FloatMode: 240
; IeeeMode: 1
; LDSByteSize: 0 bytes/workgroup (compile time only)
; SGPRBlocks: 4
; VGPRBlocks: 4
; NumSGPRsForWavesPerEU: 34
; NumVGPRsForWavesPerEU: 19
; Occupancy: 10
; WaveLimiterHint : 0
; COMPUTE_PGM_RSRC2:SCRATCH_EN: 0
; COMPUTE_PGM_RSRC2:USER_SGPR: 6
; COMPUTE_PGM_RSRC2:TRAP_HANDLER: 0
; COMPUTE_PGM_RSRC2:TGID_X_EN: 1
; COMPUTE_PGM_RSRC2:TGID_Y_EN: 1
; COMPUTE_PGM_RSRC2:TGID_Z_EN: 1
; COMPUTE_PGM_RSRC2:TIDIG_COMP_CNT: 0
	.section	.text._ZN9rocsolver6v33100L17larf_right_kernelILi1024E19rocblas_complex_numIdEiPKPS3_EEvT1_S7_T2_lS7_lPKT0_lS8_lS7_l,"axG",@progbits,_ZN9rocsolver6v33100L17larf_right_kernelILi1024E19rocblas_complex_numIdEiPKPS3_EEvT1_S7_T2_lS7_lPKT0_lS8_lS7_l,comdat
	.globl	_ZN9rocsolver6v33100L17larf_right_kernelILi1024E19rocblas_complex_numIdEiPKPS3_EEvT1_S7_T2_lS7_lPKT0_lS8_lS7_l ; -- Begin function _ZN9rocsolver6v33100L17larf_right_kernelILi1024E19rocblas_complex_numIdEiPKPS3_EEvT1_S7_T2_lS7_lPKT0_lS8_lS7_l
	.p2align	8
	.type	_ZN9rocsolver6v33100L17larf_right_kernelILi1024E19rocblas_complex_numIdEiPKPS3_EEvT1_S7_T2_lS7_lPKT0_lS8_lS7_l,@function
_ZN9rocsolver6v33100L17larf_right_kernelILi1024E19rocblas_complex_numIdEiPKPS3_EEvT1_S7_T2_lS7_lPKT0_lS8_lS7_l: ; @_ZN9rocsolver6v33100L17larf_right_kernelILi1024E19rocblas_complex_numIdEiPKPS3_EEvT1_S7_T2_lS7_lPKT0_lS8_lS7_l
; %bb.0:
	s_load_dwordx8 s[12:19], s[4:5], 0x28
	s_load_dword s24, s[4:5], 0x4
	s_load_dword s6, s[4:5], 0x48
	s_ashr_i32 s9, s8, 31
	s_lshl_b64 s[0:1], s[8:9], 3
	s_waitcnt lgkmcnt(0)
	s_add_u32 s2, s16, s0
	s_addc_u32 s3, s17, s1
	s_load_dwordx2 s[16:17], s[2:3], 0x0
	v_mov_b32_e32 v1, 0
	v_mov_b32_e32 v3, 0
	s_mov_b32 s10, s7
	s_ashr_i32 s11, s7, 31
	v_cmp_gt_i32_e32 vcc, s24, v0
	v_mov_b32_e32 v2, 0
	v_mov_b32_e32 v4, 0
	v_lshl_add_u32 v7, v0, 4, 0
	s_and_saveexec_b64 s[20:21], vcc
	s_cbranch_execz .LBB55_6
; %bb.1:
	s_load_dword s2, s[4:5], 0x18
	s_load_dwordx4 s[28:31], s[4:5], 0x8
	s_sub_i32 s4, 1, s24
	v_add_u32_e32 v8, 0x100, v7
	v_mov_b32_e32 v4, v8
	s_waitcnt lgkmcnt(0)
	s_ashr_i32 s3, s2, 31
	s_mul_i32 s7, s2, s4
	v_cmp_lt_i64_e64 s[4:5], s[2:3], 1
	v_mad_i64_i32 v[1:2], s[22:23], s2, v0, 0
	s_and_b64 s[4:5], s[4:5], exec
	s_cselect_b32 s4, s7, 0
	s_ashr_i32 s5, s4, 31
	s_add_u32 s0, s28, s0
	s_addc_u32 s1, s29, s1
	s_load_dwordx2 s[0:1], s[0:1], 0x0
	s_lshl_b64 s[22:23], s[30:31], 4
	s_lshl_b64 s[4:5], s[4:5], 4
	v_lshlrev_b64 v[1:2], 4, v[1:2]
	v_mov_b32_e32 v5, v0
	s_waitcnt lgkmcnt(0)
	s_add_u32 s0, s0, s4
	s_addc_u32 s1, s1, s5
	s_add_u32 s0, s0, s22
	s_addc_u32 s1, s1, s23
	v_mov_b32_e32 v3, s1
	v_add_co_u32_e64 v1, s[0:1], s0, v1
	s_lshl_b64 s[4:5], s[2:3], 14
	v_addc_co_u32_e64 v2, s[0:1], v3, v2, s[0:1]
	s_mov_b64 s[2:3], 0
	v_mov_b32_e32 v3, s5
.LBB55_2:                               ; =>This Inner Loop Header: Depth=1
	flat_load_dwordx4 v[9:12], v[1:2]
	v_add_co_u32_e64 v1, s[0:1], s4, v1
	v_add_u32_e32 v5, 0x400, v5
	v_addc_co_u32_e64 v2, s[0:1], v2, v3, s[0:1]
	v_cmp_le_i32_e64 s[0:1], s24, v5
	s_or_b64 s[2:3], s[0:1], s[2:3]
	s_waitcnt vmcnt(0) lgkmcnt(0)
	ds_write2_b64 v4, v[9:10], v[11:12] offset1:1
	v_add_u32_e32 v4, 0x4000, v4
	s_andn2_b64 exec, exec, s[2:3]
	s_cbranch_execnz .LBB55_2
; %bb.3:
	s_or_b64 exec, exec, s[2:3]
	v_mad_i64_i32 v[1:2], s[0:1], s6, v0, 0
	s_ashr_i32 s7, s6, 31
	s_lshl_b64 s[0:1], s[18:19], 4
	s_lshl_b64 s[2:3], s[10:11], 4
	s_add_u32 s2, s16, s2
	s_addc_u32 s3, s17, s3
	v_lshlrev_b64 v[1:2], 4, v[1:2]
	s_add_u32 s0, s2, s0
	s_addc_u32 s1, s3, s1
	v_mov_b32_e32 v3, s1
	v_add_co_u32_e64 v5, s[0:1], s0, v1
	v_addc_co_u32_e64 v6, s[0:1], v3, v2, s[0:1]
	s_lshl_b64 s[4:5], s[6:7], 14
	v_mov_b32_e32 v1, 0
	v_mov_b32_e32 v3, 0
	;; [unrolled: 1-line block ×3, first 2 shown]
	s_mov_b64 s[22:23], 0
	v_mov_b32_e32 v9, s5
	v_mov_b32_e32 v4, 0
	;; [unrolled: 1-line block ×3, first 2 shown]
.LBB55_4:                               ; =>This Inner Loop Header: Depth=1
	flat_load_dwordx4 v[11:14], v[5:6]
	ds_read2_b64 v[15:18], v8 offset1:1
	v_add_u32_e32 v10, 0x400, v10
	v_add_co_u32_e64 v5, s[0:1], s4, v5
	v_cmp_le_i32_e64 s[2:3], s24, v10
	v_add_u32_e32 v8, 0x4000, v8
	s_or_b64 s[22:23], s[2:3], s[22:23]
	v_addc_co_u32_e64 v6, s[0:1], v6, v9, s[0:1]
	s_waitcnt vmcnt(0) lgkmcnt(0)
	v_mul_f64 v[19:20], v[17:18], v[13:14]
	v_mul_f64 v[13:14], v[15:16], v[13:14]
	v_fma_f64 v[19:20], v[15:16], v[11:12], -v[19:20]
	v_fma_f64 v[11:12], v[17:18], v[11:12], v[13:14]
	v_add_f64 v[3:4], v[3:4], v[19:20]
	v_add_f64 v[1:2], v[1:2], v[11:12]
	s_andn2_b64 exec, exec, s[22:23]
	s_cbranch_execnz .LBB55_4
; %bb.5:
	s_or_b64 exec, exec, s[22:23]
.LBB55_6:
	s_or_b64 exec, exec, s[20:21]
	v_mbcnt_lo_u32_b32 v5, -1, 0
	v_mbcnt_hi_u32_b32 v10, -1, v5
	v_and_b32_e32 v11, 63, v10
	v_cmp_ne_u32_e64 s[0:1], 63, v11
	v_addc_co_u32_e64 v5, s[0:1], 0, v10, s[0:1]
	v_lshlrev_b32_e32 v9, 2, v5
	ds_bpermute_b32 v5, v9, v3
	ds_bpermute_b32 v6, v9, v4
	;; [unrolled: 1-line block ×4, first 2 shown]
	v_cmp_gt_u32_e64 s[0:1], 62, v11
	s_waitcnt lgkmcnt(0)
	v_add_f64 v[3:4], v[3:4], v[5:6]
	v_cndmask_b32_e64 v5, 0, 2, s[0:1]
	v_add_f64 v[1:2], v[1:2], v[8:9]
	v_add_lshl_u32 v9, v5, v10, 2
	v_cmp_gt_u32_e64 s[0:1], 60, v11
	ds_bpermute_b32 v5, v9, v3
	ds_bpermute_b32 v6, v9, v4
	ds_bpermute_b32 v8, v9, v1
	ds_bpermute_b32 v9, v9, v2
	s_waitcnt lgkmcnt(2)
	v_add_f64 v[3:4], v[3:4], v[5:6]
	v_cndmask_b32_e64 v5, 0, 4, s[0:1]
	s_waitcnt lgkmcnt(0)
	v_add_f64 v[1:2], v[1:2], v[8:9]
	v_add_lshl_u32 v9, v5, v10, 2
	v_cmp_gt_u32_e64 s[0:1], 56, v11
	ds_bpermute_b32 v5, v9, v3
	ds_bpermute_b32 v6, v9, v4
	ds_bpermute_b32 v8, v9, v1
	ds_bpermute_b32 v9, v9, v2
	s_waitcnt lgkmcnt(2)
	v_add_f64 v[3:4], v[3:4], v[5:6]
	v_cndmask_b32_e64 v5, 0, 8, s[0:1]
	s_waitcnt lgkmcnt(0)
	;; [unrolled: 11-line block ×3, first 2 shown]
	v_add_f64 v[1:2], v[1:2], v[8:9]
	v_add_lshl_u32 v9, v5, v10, 2
	ds_bpermute_b32 v5, v9, v3
	ds_bpermute_b32 v6, v9, v4
	;; [unrolled: 1-line block ×4, first 2 shown]
	s_waitcnt lgkmcnt(2)
	v_add_f64 v[3:4], v[3:4], v[5:6]
	s_waitcnt lgkmcnt(0)
	v_add_f64 v[5:6], v[1:2], v[8:9]
	v_mov_b32_e32 v1, 0x80
	v_lshl_or_b32 v9, v10, 2, v1
	ds_bpermute_b32 v1, v9, v3
	ds_bpermute_b32 v2, v9, v4
	;; [unrolled: 1-line block ×4, first 2 shown]
	s_waitcnt lgkmcnt(2)
	v_add_f64 v[1:2], v[3:4], v[1:2]
	s_waitcnt lgkmcnt(0)
	v_add_f64 v[3:4], v[5:6], v[8:9]
	v_and_b32_e32 v5, 63, v0
	v_cmp_eq_u32_e64 s[0:1], 0, v5
	s_and_saveexec_b64 s[2:3], s[0:1]
; %bb.7:
	v_lshrrev_b32_e32 v5, 2, v0
	v_add_u32_e32 v5, 0, v5
	ds_write2_b64 v5, v[1:2], v[3:4] offset1:1
; %bb.8:
	s_or_b64 exec, exec, s[2:3]
	v_cmp_eq_u32_e64 s[0:1], 0, v0
	s_waitcnt lgkmcnt(0)
	s_barrier
	s_and_saveexec_b64 s[2:3], s[0:1]
	s_cbranch_execz .LBB55_10
; %bb.9:
	v_mov_b32_e32 v16, 0
	ds_read2_b64 v[8:11], v16 offset0:2 offset1:3
	ds_read2_b64 v[12:15], v16 offset0:4 offset1:5
	s_waitcnt lgkmcnt(1)
	v_add_f64 v[1:2], v[1:2], v[8:9]
	v_add_f64 v[3:4], v[3:4], v[10:11]
	s_waitcnt lgkmcnt(0)
	v_add_f64 v[5:6], v[1:2], v[12:13]
	v_add_f64 v[12:13], v[3:4], v[14:15]
	ds_read2_b64 v[1:4], v16 offset0:6 offset1:7
	ds_read2_b64 v[8:11], v16 offset0:8 offset1:9
	s_waitcnt lgkmcnt(1)
	v_add_f64 v[1:2], v[5:6], v[1:2]
	v_add_f64 v[3:4], v[12:13], v[3:4]
	s_waitcnt lgkmcnt(0)
	v_add_f64 v[5:6], v[1:2], v[8:9]
	v_add_f64 v[12:13], v[3:4], v[10:11]
	;; [unrolled: 8-line block ×7, first 2 shown]
	ds_read2_b64 v[1:4], v16 offset0:30 offset1:31
	s_waitcnt lgkmcnt(0)
	v_add_f64 v[1:2], v[5:6], v[1:2]
	v_add_f64 v[3:4], v[8:9], v[3:4]
	ds_write2_b64 v16, v[1:2], v[3:4] offset1:1
.LBB55_10:
	s_or_b64 exec, exec, s[2:3]
	s_waitcnt lgkmcnt(0)
	s_barrier
	s_and_saveexec_b64 s[0:1], vcc
	s_cbranch_execz .LBB55_13
; %bb.11:
	s_mul_i32 s0, s14, s9
	s_mul_hi_u32 s1, s14, s8
	s_add_i32 s0, s1, s0
	s_mul_i32 s1, s15, s8
	s_add_i32 s1, s0, s1
	s_mul_i32 s0, s14, s8
	s_lshl_b64 s[0:1], s[0:1], 4
	s_add_u32 s4, s12, s0
	s_addc_u32 s5, s13, s1
	v_mov_b32_e32 v1, 0
	s_load_dwordx4 s[0:3], s[4:5], 0x0
	ds_read2_b64 v[3:6], v1 offset1:1
	s_ashr_i32 s7, s6, 31
	v_add_u32_e32 v7, 0x100, v7
	s_waitcnt lgkmcnt(0)
	v_mul_f64 v[1:2], s[0:1], v[3:4]
	v_mul_f64 v[8:9], s[0:1], v[5:6]
	v_mad_i64_i32 v[10:11], s[0:1], s6, v0, 0
	s_lshl_b64 s[0:1], s[18:19], 4
	v_fma_f64 v[1:2], s[2:3], v[5:6], -v[1:2]
	v_fma_f64 v[3:4], v[3:4], -s[2:3], -v[8:9]
	s_lshl_b64 s[2:3], s[10:11], 4
	s_add_u32 s2, s16, s2
	s_addc_u32 s3, s17, s3
	v_lshlrev_b64 v[5:6], 4, v[10:11]
	s_add_u32 s0, s2, s0
	s_addc_u32 s1, s3, s1
	v_mov_b32_e32 v8, s1
	v_add_co_u32_e32 v5, vcc, s0, v5
	s_lshl_b64 s[0:1], s[6:7], 14
	v_addc_co_u32_e32 v6, vcc, v8, v6, vcc
	s_mov_b64 s[2:3], 0
	v_mov_b32_e32 v8, s1
.LBB55_12:                              ; =>This Inner Loop Header: Depth=1
	ds_read2_b64 v[9:12], v7 offset1:1
	v_add_u32_e32 v0, 0x400, v0
	v_cmp_le_i32_e32 vcc, s24, v0
	s_or_b64 s[2:3], vcc, s[2:3]
	v_add_u32_e32 v7, 0x4000, v7
	s_waitcnt lgkmcnt(0)
	v_mul_f64 v[13:14], v[3:4], v[11:12]
	v_mul_f64 v[11:12], v[1:2], v[11:12]
	v_fma_f64 v[13:14], v[1:2], v[9:10], v[13:14]
	v_fma_f64 v[15:16], v[3:4], v[9:10], -v[11:12]
	flat_load_dwordx4 v[9:12], v[5:6]
	s_waitcnt vmcnt(0) lgkmcnt(0)
	v_add_f64 v[9:10], v[9:10], v[13:14]
	v_add_f64 v[11:12], v[15:16], v[11:12]
	flat_store_dwordx4 v[5:6], v[9:12]
	v_add_co_u32_e32 v5, vcc, s0, v5
	v_addc_co_u32_e32 v6, vcc, v6, v8, vcc
	s_andn2_b64 exec, exec, s[2:3]
	s_cbranch_execnz .LBB55_12
.LBB55_13:
	s_endpgm
	.section	.rodata,"a",@progbits
	.p2align	6, 0x0
	.amdhsa_kernel _ZN9rocsolver6v33100L17larf_right_kernelILi1024E19rocblas_complex_numIdEiPKPS3_EEvT1_S7_T2_lS7_lPKT0_lS8_lS7_l
		.amdhsa_group_segment_fixed_size 0
		.amdhsa_private_segment_fixed_size 0
		.amdhsa_kernarg_size 88
		.amdhsa_user_sgpr_count 6
		.amdhsa_user_sgpr_private_segment_buffer 1
		.amdhsa_user_sgpr_dispatch_ptr 0
		.amdhsa_user_sgpr_queue_ptr 0
		.amdhsa_user_sgpr_kernarg_segment_ptr 1
		.amdhsa_user_sgpr_dispatch_id 0
		.amdhsa_user_sgpr_flat_scratch_init 0
		.amdhsa_user_sgpr_private_segment_size 0
		.amdhsa_uses_dynamic_stack 0
		.amdhsa_system_sgpr_private_segment_wavefront_offset 0
		.amdhsa_system_sgpr_workgroup_id_x 1
		.amdhsa_system_sgpr_workgroup_id_y 1
		.amdhsa_system_sgpr_workgroup_id_z 1
		.amdhsa_system_sgpr_workgroup_info 0
		.amdhsa_system_vgpr_workitem_id 0
		.amdhsa_next_free_vgpr 21
		.amdhsa_next_free_sgpr 32
		.amdhsa_reserve_vcc 1
		.amdhsa_reserve_flat_scratch 0
		.amdhsa_float_round_mode_32 0
		.amdhsa_float_round_mode_16_64 0
		.amdhsa_float_denorm_mode_32 3
		.amdhsa_float_denorm_mode_16_64 3
		.amdhsa_dx10_clamp 1
		.amdhsa_ieee_mode 1
		.amdhsa_fp16_overflow 0
		.amdhsa_exception_fp_ieee_invalid_op 0
		.amdhsa_exception_fp_denorm_src 0
		.amdhsa_exception_fp_ieee_div_zero 0
		.amdhsa_exception_fp_ieee_overflow 0
		.amdhsa_exception_fp_ieee_underflow 0
		.amdhsa_exception_fp_ieee_inexact 0
		.amdhsa_exception_int_div_zero 0
	.end_amdhsa_kernel
	.section	.text._ZN9rocsolver6v33100L17larf_right_kernelILi1024E19rocblas_complex_numIdEiPKPS3_EEvT1_S7_T2_lS7_lPKT0_lS8_lS7_l,"axG",@progbits,_ZN9rocsolver6v33100L17larf_right_kernelILi1024E19rocblas_complex_numIdEiPKPS3_EEvT1_S7_T2_lS7_lPKT0_lS8_lS7_l,comdat
.Lfunc_end55:
	.size	_ZN9rocsolver6v33100L17larf_right_kernelILi1024E19rocblas_complex_numIdEiPKPS3_EEvT1_S7_T2_lS7_lPKT0_lS8_lS7_l, .Lfunc_end55-_ZN9rocsolver6v33100L17larf_right_kernelILi1024E19rocblas_complex_numIdEiPKPS3_EEvT1_S7_T2_lS7_lPKT0_lS8_lS7_l
                                        ; -- End function
	.set _ZN9rocsolver6v33100L17larf_right_kernelILi1024E19rocblas_complex_numIdEiPKPS3_EEvT1_S7_T2_lS7_lPKT0_lS8_lS7_l.num_vgpr, 21
	.set _ZN9rocsolver6v33100L17larf_right_kernelILi1024E19rocblas_complex_numIdEiPKPS3_EEvT1_S7_T2_lS7_lPKT0_lS8_lS7_l.num_agpr, 0
	.set _ZN9rocsolver6v33100L17larf_right_kernelILi1024E19rocblas_complex_numIdEiPKPS3_EEvT1_S7_T2_lS7_lPKT0_lS8_lS7_l.numbered_sgpr, 32
	.set _ZN9rocsolver6v33100L17larf_right_kernelILi1024E19rocblas_complex_numIdEiPKPS3_EEvT1_S7_T2_lS7_lPKT0_lS8_lS7_l.num_named_barrier, 0
	.set _ZN9rocsolver6v33100L17larf_right_kernelILi1024E19rocblas_complex_numIdEiPKPS3_EEvT1_S7_T2_lS7_lPKT0_lS8_lS7_l.private_seg_size, 0
	.set _ZN9rocsolver6v33100L17larf_right_kernelILi1024E19rocblas_complex_numIdEiPKPS3_EEvT1_S7_T2_lS7_lPKT0_lS8_lS7_l.uses_vcc, 1
	.set _ZN9rocsolver6v33100L17larf_right_kernelILi1024E19rocblas_complex_numIdEiPKPS3_EEvT1_S7_T2_lS7_lPKT0_lS8_lS7_l.uses_flat_scratch, 0
	.set _ZN9rocsolver6v33100L17larf_right_kernelILi1024E19rocblas_complex_numIdEiPKPS3_EEvT1_S7_T2_lS7_lPKT0_lS8_lS7_l.has_dyn_sized_stack, 0
	.set _ZN9rocsolver6v33100L17larf_right_kernelILi1024E19rocblas_complex_numIdEiPKPS3_EEvT1_S7_T2_lS7_lPKT0_lS8_lS7_l.has_recursion, 0
	.set _ZN9rocsolver6v33100L17larf_right_kernelILi1024E19rocblas_complex_numIdEiPKPS3_EEvT1_S7_T2_lS7_lPKT0_lS8_lS7_l.has_indirect_call, 0
	.section	.AMDGPU.csdata,"",@progbits
; Kernel info:
; codeLenInByte = 1844
; TotalNumSgprs: 36
; NumVgprs: 21
; ScratchSize: 0
; MemoryBound: 0
; FloatMode: 240
; IeeeMode: 1
; LDSByteSize: 0 bytes/workgroup (compile time only)
; SGPRBlocks: 4
; VGPRBlocks: 5
; NumSGPRsForWavesPerEU: 36
; NumVGPRsForWavesPerEU: 21
; Occupancy: 10
; WaveLimiterHint : 0
; COMPUTE_PGM_RSRC2:SCRATCH_EN: 0
; COMPUTE_PGM_RSRC2:USER_SGPR: 6
; COMPUTE_PGM_RSRC2:TRAP_HANDLER: 0
; COMPUTE_PGM_RSRC2:TGID_X_EN: 1
; COMPUTE_PGM_RSRC2:TGID_Y_EN: 1
; COMPUTE_PGM_RSRC2:TGID_Z_EN: 1
; COMPUTE_PGM_RSRC2:TIDIG_COMP_CNT: 0
	.section	.text._ZN9rocsolver6v33100L9get_arrayI19rocblas_complex_numIdEiEEvPPT_S5_lT0_,"axG",@progbits,_ZN9rocsolver6v33100L9get_arrayI19rocblas_complex_numIdEiEEvPPT_S5_lT0_,comdat
	.globl	_ZN9rocsolver6v33100L9get_arrayI19rocblas_complex_numIdEiEEvPPT_S5_lT0_ ; -- Begin function _ZN9rocsolver6v33100L9get_arrayI19rocblas_complex_numIdEiEEvPPT_S5_lT0_
	.p2align	8
	.type	_ZN9rocsolver6v33100L9get_arrayI19rocblas_complex_numIdEiEEvPPT_S5_lT0_,@function
_ZN9rocsolver6v33100L9get_arrayI19rocblas_complex_numIdEiEEvPPT_S5_lT0_: ; @_ZN9rocsolver6v33100L9get_arrayI19rocblas_complex_numIdEiEEvPPT_S5_lT0_
; %bb.0:
	s_load_dword s0, s[4:5], 0x2c
	s_load_dword s1, s[4:5], 0x18
	s_waitcnt lgkmcnt(0)
	s_and_b32 s0, s0, 0xffff
	s_mul_i32 s6, s6, s0
	v_add_u32_e32 v0, s6, v0
	v_cmp_gt_i32_e32 vcc, s1, v0
	s_and_saveexec_b64 s[0:1], vcc
	s_cbranch_execz .LBB56_2
; %bb.1:
	s_load_dwordx2 s[6:7], s[4:5], 0x10
	s_load_dwordx4 s[0:3], s[4:5], 0x0
	v_ashrrev_i32_e32 v1, 31, v0
	s_waitcnt lgkmcnt(0)
	v_mul_lo_u32 v4, s7, v0
	v_mul_lo_u32 v5, s6, v1
	v_mad_u64_u32 v[2:3], s[4:5], s6, v0, 0
	v_mov_b32_e32 v6, s3
	v_lshlrev_b64 v[0:1], 3, v[0:1]
	v_add3_u32 v3, v3, v5, v4
	v_lshlrev_b64 v[2:3], 4, v[2:3]
	v_mov_b32_e32 v4, s1
	v_add_co_u32_e32 v2, vcc, s2, v2
	v_addc_co_u32_e32 v3, vcc, v6, v3, vcc
	v_add_co_u32_e32 v0, vcc, s0, v0
	v_addc_co_u32_e32 v1, vcc, v4, v1, vcc
	global_store_dwordx2 v[0:1], v[2:3], off
.LBB56_2:
	s_endpgm
	.section	.rodata,"a",@progbits
	.p2align	6, 0x0
	.amdhsa_kernel _ZN9rocsolver6v33100L9get_arrayI19rocblas_complex_numIdEiEEvPPT_S5_lT0_
		.amdhsa_group_segment_fixed_size 0
		.amdhsa_private_segment_fixed_size 0
		.amdhsa_kernarg_size 288
		.amdhsa_user_sgpr_count 6
		.amdhsa_user_sgpr_private_segment_buffer 1
		.amdhsa_user_sgpr_dispatch_ptr 0
		.amdhsa_user_sgpr_queue_ptr 0
		.amdhsa_user_sgpr_kernarg_segment_ptr 1
		.amdhsa_user_sgpr_dispatch_id 0
		.amdhsa_user_sgpr_flat_scratch_init 0
		.amdhsa_user_sgpr_private_segment_size 0
		.amdhsa_uses_dynamic_stack 0
		.amdhsa_system_sgpr_private_segment_wavefront_offset 0
		.amdhsa_system_sgpr_workgroup_id_x 1
		.amdhsa_system_sgpr_workgroup_id_y 0
		.amdhsa_system_sgpr_workgroup_id_z 0
		.amdhsa_system_sgpr_workgroup_info 0
		.amdhsa_system_vgpr_workitem_id 0
		.amdhsa_next_free_vgpr 7
		.amdhsa_next_free_sgpr 8
		.amdhsa_reserve_vcc 1
		.amdhsa_reserve_flat_scratch 0
		.amdhsa_float_round_mode_32 0
		.amdhsa_float_round_mode_16_64 0
		.amdhsa_float_denorm_mode_32 3
		.amdhsa_float_denorm_mode_16_64 3
		.amdhsa_dx10_clamp 1
		.amdhsa_ieee_mode 1
		.amdhsa_fp16_overflow 0
		.amdhsa_exception_fp_ieee_invalid_op 0
		.amdhsa_exception_fp_denorm_src 0
		.amdhsa_exception_fp_ieee_div_zero 0
		.amdhsa_exception_fp_ieee_overflow 0
		.amdhsa_exception_fp_ieee_underflow 0
		.amdhsa_exception_fp_ieee_inexact 0
		.amdhsa_exception_int_div_zero 0
	.end_amdhsa_kernel
	.section	.text._ZN9rocsolver6v33100L9get_arrayI19rocblas_complex_numIdEiEEvPPT_S5_lT0_,"axG",@progbits,_ZN9rocsolver6v33100L9get_arrayI19rocblas_complex_numIdEiEEvPPT_S5_lT0_,comdat
.Lfunc_end56:
	.size	_ZN9rocsolver6v33100L9get_arrayI19rocblas_complex_numIdEiEEvPPT_S5_lT0_, .Lfunc_end56-_ZN9rocsolver6v33100L9get_arrayI19rocblas_complex_numIdEiEEvPPT_S5_lT0_
                                        ; -- End function
	.set _ZN9rocsolver6v33100L9get_arrayI19rocblas_complex_numIdEiEEvPPT_S5_lT0_.num_vgpr, 7
	.set _ZN9rocsolver6v33100L9get_arrayI19rocblas_complex_numIdEiEEvPPT_S5_lT0_.num_agpr, 0
	.set _ZN9rocsolver6v33100L9get_arrayI19rocblas_complex_numIdEiEEvPPT_S5_lT0_.numbered_sgpr, 8
	.set _ZN9rocsolver6v33100L9get_arrayI19rocblas_complex_numIdEiEEvPPT_S5_lT0_.num_named_barrier, 0
	.set _ZN9rocsolver6v33100L9get_arrayI19rocblas_complex_numIdEiEEvPPT_S5_lT0_.private_seg_size, 0
	.set _ZN9rocsolver6v33100L9get_arrayI19rocblas_complex_numIdEiEEvPPT_S5_lT0_.uses_vcc, 1
	.set _ZN9rocsolver6v33100L9get_arrayI19rocblas_complex_numIdEiEEvPPT_S5_lT0_.uses_flat_scratch, 0
	.set _ZN9rocsolver6v33100L9get_arrayI19rocblas_complex_numIdEiEEvPPT_S5_lT0_.has_dyn_sized_stack, 0
	.set _ZN9rocsolver6v33100L9get_arrayI19rocblas_complex_numIdEiEEvPPT_S5_lT0_.has_recursion, 0
	.set _ZN9rocsolver6v33100L9get_arrayI19rocblas_complex_numIdEiEEvPPT_S5_lT0_.has_indirect_call, 0
	.section	.AMDGPU.csdata,"",@progbits
; Kernel info:
; codeLenInByte = 156
; TotalNumSgprs: 12
; NumVgprs: 7
; ScratchSize: 0
; MemoryBound: 0
; FloatMode: 240
; IeeeMode: 1
; LDSByteSize: 0 bytes/workgroup (compile time only)
; SGPRBlocks: 1
; VGPRBlocks: 1
; NumSGPRsForWavesPerEU: 12
; NumVGPRsForWavesPerEU: 7
; Occupancy: 10
; WaveLimiterHint : 0
; COMPUTE_PGM_RSRC2:SCRATCH_EN: 0
; COMPUTE_PGM_RSRC2:USER_SGPR: 6
; COMPUTE_PGM_RSRC2:TRAP_HANDLER: 0
; COMPUTE_PGM_RSRC2:TGID_X_EN: 1
; COMPUTE_PGM_RSRC2:TGID_Y_EN: 0
; COMPUTE_PGM_RSRC2:TGID_Z_EN: 0
; COMPUTE_PGM_RSRC2:TIDIG_COMP_CNT: 0
	.section	.text._ZN9rocsolver6v33100L12restore_diagI19rocblas_complex_numIdEidPKPS3_EEvPT1_llT2_lT0_lSA_,"axG",@progbits,_ZN9rocsolver6v33100L12restore_diagI19rocblas_complex_numIdEidPKPS3_EEvPT1_llT2_lT0_lSA_,comdat
	.globl	_ZN9rocsolver6v33100L12restore_diagI19rocblas_complex_numIdEidPKPS3_EEvPT1_llT2_lT0_lSA_ ; -- Begin function _ZN9rocsolver6v33100L12restore_diagI19rocblas_complex_numIdEidPKPS3_EEvPT1_llT2_lT0_lSA_
	.p2align	8
	.type	_ZN9rocsolver6v33100L12restore_diagI19rocblas_complex_numIdEidPKPS3_EEvPT1_llT2_lT0_lSA_,@function
_ZN9rocsolver6v33100L12restore_diagI19rocblas_complex_numIdEidPKPS3_EEvPT1_llT2_lT0_lSA_: ; @_ZN9rocsolver6v33100L12restore_diagI19rocblas_complex_numIdEidPKPS3_EEvPT1_llT2_lT0_lSA_
; %bb.0:
	s_load_dword s0, s[4:5], 0x4c
	s_load_dword s1, s[4:5], 0x38
	s_waitcnt lgkmcnt(0)
	s_lshr_b32 s0, s0, 16
	s_mul_i32 s7, s7, s0
	v_add_u32_e32 v0, s7, v1
	v_cmp_gt_i32_e32 vcc, s1, v0
	s_and_saveexec_b64 s[0:1], vcc
	s_cbranch_execz .LBB57_2
; %bb.1:
	s_load_dwordx8 s[8:15], s[4:5], 0x0
	s_load_dwordx2 s[0:1], s[4:5], 0x20
	s_ashr_i32 s7, s6, 31
	s_lshl_b64 s[2:3], s[6:7], 3
	s_waitcnt lgkmcnt(0)
	s_add_u32 s2, s14, s2
	s_addc_u32 s3, s15, s3
	s_load_dwordx2 s[14:15], s[2:3], 0x0
	s_load_dword s16, s[4:5], 0x28
	s_lshl_b64 s[0:1], s[0:1], 4
	s_mul_hi_u32 s2, s12, s6
	s_mul_i32 s3, s12, s7
	s_waitcnt lgkmcnt(0)
	s_add_u32 s4, s14, s0
	s_addc_u32 s5, s15, s1
	s_add_i32 s0, s2, s3
	s_mul_i32 s1, s13, s6
	s_add_i32 s1, s0, s1
	s_mul_i32 s0, s12, s6
	s_lshl_b64 s[0:1], s[0:1], 3
	s_add_u32 s2, s8, s0
	s_addc_u32 s3, s9, s1
	s_lshl_b64 s[0:1], s[10:11], 3
	s_add_u32 s2, s2, s0
	s_addc_u32 s3, s3, s1
	v_mad_u64_u32 v[2:3], s[0:1], v0, s16, v[0:1]
	v_ashrrev_i32_e32 v1, 31, v0
	v_lshlrev_b64 v[0:1], 3, v[0:1]
	v_mov_b32_e32 v3, s3
	v_add_co_u32_e32 v0, vcc, s2, v0
	v_addc_co_u32_e32 v1, vcc, v3, v1, vcc
	global_load_dwordx2 v[0:1], v[0:1], off
	v_ashrrev_i32_e32 v3, 31, v2
	v_lshlrev_b64 v[2:3], 4, v[2:3]
	v_mov_b32_e32 v5, s5
	v_add_co_u32_e32 v4, vcc, s4, v2
	v_mov_b32_e32 v2, 0
	v_addc_co_u32_e32 v5, vcc, v5, v3, vcc
	v_mov_b32_e32 v3, v2
	s_waitcnt vmcnt(0)
	flat_store_dwordx4 v[4:5], v[0:3]
.LBB57_2:
	s_endpgm
	.section	.rodata,"a",@progbits
	.p2align	6, 0x0
	.amdhsa_kernel _ZN9rocsolver6v33100L12restore_diagI19rocblas_complex_numIdEidPKPS3_EEvPT1_llT2_lT0_lSA_
		.amdhsa_group_segment_fixed_size 0
		.amdhsa_private_segment_fixed_size 0
		.amdhsa_kernarg_size 320
		.amdhsa_user_sgpr_count 6
		.amdhsa_user_sgpr_private_segment_buffer 1
		.amdhsa_user_sgpr_dispatch_ptr 0
		.amdhsa_user_sgpr_queue_ptr 0
		.amdhsa_user_sgpr_kernarg_segment_ptr 1
		.amdhsa_user_sgpr_dispatch_id 0
		.amdhsa_user_sgpr_flat_scratch_init 0
		.amdhsa_user_sgpr_private_segment_size 0
		.amdhsa_uses_dynamic_stack 0
		.amdhsa_system_sgpr_private_segment_wavefront_offset 0
		.amdhsa_system_sgpr_workgroup_id_x 1
		.amdhsa_system_sgpr_workgroup_id_y 1
		.amdhsa_system_sgpr_workgroup_id_z 0
		.amdhsa_system_sgpr_workgroup_info 0
		.amdhsa_system_vgpr_workitem_id 1
		.amdhsa_next_free_vgpr 6
		.amdhsa_next_free_sgpr 17
		.amdhsa_reserve_vcc 1
		.amdhsa_reserve_flat_scratch 0
		.amdhsa_float_round_mode_32 0
		.amdhsa_float_round_mode_16_64 0
		.amdhsa_float_denorm_mode_32 3
		.amdhsa_float_denorm_mode_16_64 3
		.amdhsa_dx10_clamp 1
		.amdhsa_ieee_mode 1
		.amdhsa_fp16_overflow 0
		.amdhsa_exception_fp_ieee_invalid_op 0
		.amdhsa_exception_fp_denorm_src 0
		.amdhsa_exception_fp_ieee_div_zero 0
		.amdhsa_exception_fp_ieee_overflow 0
		.amdhsa_exception_fp_ieee_underflow 0
		.amdhsa_exception_fp_ieee_inexact 0
		.amdhsa_exception_int_div_zero 0
	.end_amdhsa_kernel
	.section	.text._ZN9rocsolver6v33100L12restore_diagI19rocblas_complex_numIdEidPKPS3_EEvPT1_llT2_lT0_lSA_,"axG",@progbits,_ZN9rocsolver6v33100L12restore_diagI19rocblas_complex_numIdEidPKPS3_EEvPT1_llT2_lT0_lSA_,comdat
.Lfunc_end57:
	.size	_ZN9rocsolver6v33100L12restore_diagI19rocblas_complex_numIdEidPKPS3_EEvPT1_llT2_lT0_lSA_, .Lfunc_end57-_ZN9rocsolver6v33100L12restore_diagI19rocblas_complex_numIdEidPKPS3_EEvPT1_llT2_lT0_lSA_
                                        ; -- End function
	.set _ZN9rocsolver6v33100L12restore_diagI19rocblas_complex_numIdEidPKPS3_EEvPT1_llT2_lT0_lSA_.num_vgpr, 6
	.set _ZN9rocsolver6v33100L12restore_diagI19rocblas_complex_numIdEidPKPS3_EEvPT1_llT2_lT0_lSA_.num_agpr, 0
	.set _ZN9rocsolver6v33100L12restore_diagI19rocblas_complex_numIdEidPKPS3_EEvPT1_llT2_lT0_lSA_.numbered_sgpr, 17
	.set _ZN9rocsolver6v33100L12restore_diagI19rocblas_complex_numIdEidPKPS3_EEvPT1_llT2_lT0_lSA_.num_named_barrier, 0
	.set _ZN9rocsolver6v33100L12restore_diagI19rocblas_complex_numIdEidPKPS3_EEvPT1_llT2_lT0_lSA_.private_seg_size, 0
	.set _ZN9rocsolver6v33100L12restore_diagI19rocblas_complex_numIdEidPKPS3_EEvPT1_llT2_lT0_lSA_.uses_vcc, 1
	.set _ZN9rocsolver6v33100L12restore_diagI19rocblas_complex_numIdEidPKPS3_EEvPT1_llT2_lT0_lSA_.uses_flat_scratch, 0
	.set _ZN9rocsolver6v33100L12restore_diagI19rocblas_complex_numIdEidPKPS3_EEvPT1_llT2_lT0_lSA_.has_dyn_sized_stack, 0
	.set _ZN9rocsolver6v33100L12restore_diagI19rocblas_complex_numIdEidPKPS3_EEvPT1_llT2_lT0_lSA_.has_recursion, 0
	.set _ZN9rocsolver6v33100L12restore_diagI19rocblas_complex_numIdEidPKPS3_EEvPT1_llT2_lT0_lSA_.has_indirect_call, 0
	.section	.AMDGPU.csdata,"",@progbits
; Kernel info:
; codeLenInByte = 248
; TotalNumSgprs: 21
; NumVgprs: 6
; ScratchSize: 0
; MemoryBound: 0
; FloatMode: 240
; IeeeMode: 1
; LDSByteSize: 0 bytes/workgroup (compile time only)
; SGPRBlocks: 2
; VGPRBlocks: 1
; NumSGPRsForWavesPerEU: 21
; NumVGPRsForWavesPerEU: 6
; Occupancy: 10
; WaveLimiterHint : 1
; COMPUTE_PGM_RSRC2:SCRATCH_EN: 0
; COMPUTE_PGM_RSRC2:USER_SGPR: 6
; COMPUTE_PGM_RSRC2:TRAP_HANDLER: 0
; COMPUTE_PGM_RSRC2:TGID_X_EN: 1
; COMPUTE_PGM_RSRC2:TGID_Y_EN: 1
; COMPUTE_PGM_RSRC2:TGID_Z_EN: 0
; COMPUTE_PGM_RSRC2:TIDIG_COMP_CNT: 1
	.section	.text._ZN9rocsolver6v33100L13larft_set_triI19rocblas_complex_numIdEPKPS3_EEv13rocblas_fill_iT0_iilPT_,"axG",@progbits,_ZN9rocsolver6v33100L13larft_set_triI19rocblas_complex_numIdEPKPS3_EEv13rocblas_fill_iT0_iilPT_,comdat
	.globl	_ZN9rocsolver6v33100L13larft_set_triI19rocblas_complex_numIdEPKPS3_EEv13rocblas_fill_iT0_iilPT_ ; -- Begin function _ZN9rocsolver6v33100L13larft_set_triI19rocblas_complex_numIdEPKPS3_EEv13rocblas_fill_iT0_iilPT_
	.p2align	8
	.type	_ZN9rocsolver6v33100L13larft_set_triI19rocblas_complex_numIdEPKPS3_EEv13rocblas_fill_iT0_iilPT_,@function
_ZN9rocsolver6v33100L13larft_set_triI19rocblas_complex_numIdEPKPS3_EEv13rocblas_fill_iT0_iilPT_: ; @_ZN9rocsolver6v33100L13larft_set_triI19rocblas_complex_numIdEPKPS3_EEv13rocblas_fill_iT0_iilPT_
; %bb.0:
	s_load_dword s2, s[4:5], 0x34
	s_load_dwordx2 s[0:1], s[4:5], 0x0
	s_waitcnt lgkmcnt(0)
	s_lshr_b32 s3, s2, 16
	s_and_b32 s2, s2, 0xffff
	s_mul_i32 s7, s7, s3
	s_mul_i32 s6, s6, s2
	v_add_u32_e32 v1, s7, v1
	v_add_u32_e32 v0, s6, v0
	v_max_u32_e32 v2, v1, v0
	v_cmp_gt_u32_e32 vcc, s1, v2
	s_and_saveexec_b64 s[2:3], vcc
	s_cbranch_execz .LBB58_3
; %bb.1:
	s_cmpk_lg_i32 s0, 0x7a
	s_cselect_b64 s[2:3], -1, 0
	s_cmpk_lg_i32 s0, 0x79
	s_cselect_b64 s[6:7], -1, 0
	v_cmp_lt_u32_e32 vcc, v1, v0
	s_or_b64 s[6:7], s[6:7], vcc
	v_cmp_lt_u32_e32 vcc, v0, v1
	s_or_b64 s[2:3], s[2:3], vcc
	s_and_b64 s[2:3], s[6:7], s[2:3]
	s_xor_b64 s[2:3], s[2:3], -1
	s_and_b64 exec, exec, s[2:3]
	s_cbranch_execz .LBB58_3
; %bb.2:
	s_load_dwordx4 s[12:15], s[4:5], 0x8
	s_load_dwordx2 s[2:3], s[4:5], 0x20
	s_mov_b32 s9, 0
	s_ashr_i32 s0, s1, 31
	s_lshl_b64 s[4:5], s[8:9], 3
	s_waitcnt lgkmcnt(0)
	s_ashr_i32 s7, s14, 31
	s_add_u32 s4, s12, s4
	s_addc_u32 s5, s13, s5
	s_load_dwordx2 s[4:5], s[4:5], 0x0
	v_mad_u64_u32 v[3:4], s[10:11], v1, s15, v[0:1]
	s_mov_b32 s6, s14
	s_lshl_b64 s[6:7], s[6:7], 4
	v_mov_b32_e32 v4, 0
	s_waitcnt lgkmcnt(0)
	s_add_u32 s4, s4, s6
	v_lshlrev_b64 v[2:3], 4, v[3:4]
	s_addc_u32 s5, s5, s7
	v_mov_b32_e32 v5, s5
	v_add_co_u32_e32 v10, vcc, s4, v2
	v_addc_co_u32_e32 v11, vcc, v5, v3, vcc
	flat_load_dwordx4 v[6:9], v[10:11]
	v_mad_u64_u32 v[12:13], s[4:5], v1, s1, v[0:1]
	s_mul_hi_u32 s6, s1, s8
	s_mul_i32 s7, s1, s8
	s_mul_i32 s4, s0, s8
	;; [unrolled: 1-line block ×3, first 2 shown]
	s_mul_hi_u32 s8, s7, s1
	s_add_i32 s4, s6, s4
	s_add_i32 s5, s8, s5
	s_mul_i32 s4, s4, s1
	s_mul_i32 s0, s7, s1
	s_add_i32 s1, s5, s4
	v_mov_b32_e32 v13, v4
	s_lshl_b64 s[0:1], s[0:1], 4
	v_lshlrev_b64 v[12:13], 4, v[12:13]
	s_add_u32 s0, s2, s0
	v_mov_b32_e32 v3, 0x3ff00000
	v_cmp_eq_u32_e32 vcc, v0, v1
	s_addc_u32 s1, s3, s1
	v_cndmask_b32_e32 v3, 0, v3, vcc
	v_mov_b32_e32 v1, s1
	v_add_co_u32_e32 v0, vcc, s0, v12
	v_addc_co_u32_e32 v1, vcc, v1, v13, vcc
	v_mov_b32_e32 v2, v4
	v_mov_b32_e32 v5, v4
	s_waitcnt vmcnt(0) lgkmcnt(0)
	global_store_dwordx4 v[0:1], v[6:9], off
	flat_store_dwordx4 v[10:11], v[2:5]
.LBB58_3:
	s_endpgm
	.section	.rodata,"a",@progbits
	.p2align	6, 0x0
	.amdhsa_kernel _ZN9rocsolver6v33100L13larft_set_triI19rocblas_complex_numIdEPKPS3_EEv13rocblas_fill_iT0_iilPT_
		.amdhsa_group_segment_fixed_size 0
		.amdhsa_private_segment_fixed_size 0
		.amdhsa_kernarg_size 296
		.amdhsa_user_sgpr_count 6
		.amdhsa_user_sgpr_private_segment_buffer 1
		.amdhsa_user_sgpr_dispatch_ptr 0
		.amdhsa_user_sgpr_queue_ptr 0
		.amdhsa_user_sgpr_kernarg_segment_ptr 1
		.amdhsa_user_sgpr_dispatch_id 0
		.amdhsa_user_sgpr_flat_scratch_init 0
		.amdhsa_user_sgpr_private_segment_size 0
		.amdhsa_uses_dynamic_stack 0
		.amdhsa_system_sgpr_private_segment_wavefront_offset 0
		.amdhsa_system_sgpr_workgroup_id_x 1
		.amdhsa_system_sgpr_workgroup_id_y 1
		.amdhsa_system_sgpr_workgroup_id_z 1
		.amdhsa_system_sgpr_workgroup_info 0
		.amdhsa_system_vgpr_workitem_id 1
		.amdhsa_next_free_vgpr 14
		.amdhsa_next_free_sgpr 16
		.amdhsa_reserve_vcc 1
		.amdhsa_reserve_flat_scratch 0
		.amdhsa_float_round_mode_32 0
		.amdhsa_float_round_mode_16_64 0
		.amdhsa_float_denorm_mode_32 3
		.amdhsa_float_denorm_mode_16_64 3
		.amdhsa_dx10_clamp 1
		.amdhsa_ieee_mode 1
		.amdhsa_fp16_overflow 0
		.amdhsa_exception_fp_ieee_invalid_op 0
		.amdhsa_exception_fp_denorm_src 0
		.amdhsa_exception_fp_ieee_div_zero 0
		.amdhsa_exception_fp_ieee_overflow 0
		.amdhsa_exception_fp_ieee_underflow 0
		.amdhsa_exception_fp_ieee_inexact 0
		.amdhsa_exception_int_div_zero 0
	.end_amdhsa_kernel
	.section	.text._ZN9rocsolver6v33100L13larft_set_triI19rocblas_complex_numIdEPKPS3_EEv13rocblas_fill_iT0_iilPT_,"axG",@progbits,_ZN9rocsolver6v33100L13larft_set_triI19rocblas_complex_numIdEPKPS3_EEv13rocblas_fill_iT0_iilPT_,comdat
.Lfunc_end58:
	.size	_ZN9rocsolver6v33100L13larft_set_triI19rocblas_complex_numIdEPKPS3_EEv13rocblas_fill_iT0_iilPT_, .Lfunc_end58-_ZN9rocsolver6v33100L13larft_set_triI19rocblas_complex_numIdEPKPS3_EEv13rocblas_fill_iT0_iilPT_
                                        ; -- End function
	.set _ZN9rocsolver6v33100L13larft_set_triI19rocblas_complex_numIdEPKPS3_EEv13rocblas_fill_iT0_iilPT_.num_vgpr, 14
	.set _ZN9rocsolver6v33100L13larft_set_triI19rocblas_complex_numIdEPKPS3_EEv13rocblas_fill_iT0_iilPT_.num_agpr, 0
	.set _ZN9rocsolver6v33100L13larft_set_triI19rocblas_complex_numIdEPKPS3_EEv13rocblas_fill_iT0_iilPT_.numbered_sgpr, 16
	.set _ZN9rocsolver6v33100L13larft_set_triI19rocblas_complex_numIdEPKPS3_EEv13rocblas_fill_iT0_iilPT_.num_named_barrier, 0
	.set _ZN9rocsolver6v33100L13larft_set_triI19rocblas_complex_numIdEPKPS3_EEv13rocblas_fill_iT0_iilPT_.private_seg_size, 0
	.set _ZN9rocsolver6v33100L13larft_set_triI19rocblas_complex_numIdEPKPS3_EEv13rocblas_fill_iT0_iilPT_.uses_vcc, 1
	.set _ZN9rocsolver6v33100L13larft_set_triI19rocblas_complex_numIdEPKPS3_EEv13rocblas_fill_iT0_iilPT_.uses_flat_scratch, 0
	.set _ZN9rocsolver6v33100L13larft_set_triI19rocblas_complex_numIdEPKPS3_EEv13rocblas_fill_iT0_iilPT_.has_dyn_sized_stack, 0
	.set _ZN9rocsolver6v33100L13larft_set_triI19rocblas_complex_numIdEPKPS3_EEv13rocblas_fill_iT0_iilPT_.has_recursion, 0
	.set _ZN9rocsolver6v33100L13larft_set_triI19rocblas_complex_numIdEPKPS3_EEv13rocblas_fill_iT0_iilPT_.has_indirect_call, 0
	.section	.AMDGPU.csdata,"",@progbits
; Kernel info:
; codeLenInByte = 356
; TotalNumSgprs: 20
; NumVgprs: 14
; ScratchSize: 0
; MemoryBound: 0
; FloatMode: 240
; IeeeMode: 1
; LDSByteSize: 0 bytes/workgroup (compile time only)
; SGPRBlocks: 2
; VGPRBlocks: 3
; NumSGPRsForWavesPerEU: 20
; NumVGPRsForWavesPerEU: 14
; Occupancy: 10
; WaveLimiterHint : 1
; COMPUTE_PGM_RSRC2:SCRATCH_EN: 0
; COMPUTE_PGM_RSRC2:USER_SGPR: 6
; COMPUTE_PGM_RSRC2:TRAP_HANDLER: 0
; COMPUTE_PGM_RSRC2:TGID_X_EN: 1
; COMPUTE_PGM_RSRC2:TGID_Y_EN: 1
; COMPUTE_PGM_RSRC2:TGID_Z_EN: 1
; COMPUTE_PGM_RSRC2:TIDIG_COMP_CNT: 1
	.section	.text._ZN9rocsolver6v33100L14larft_set_diagI19rocblas_complex_numIdEEEviPT_lS5_il,"axG",@progbits,_ZN9rocsolver6v33100L14larft_set_diagI19rocblas_complex_numIdEEEviPT_lS5_il,comdat
	.globl	_ZN9rocsolver6v33100L14larft_set_diagI19rocblas_complex_numIdEEEviPT_lS5_il ; -- Begin function _ZN9rocsolver6v33100L14larft_set_diagI19rocblas_complex_numIdEEEviPT_lS5_il
	.p2align	8
	.type	_ZN9rocsolver6v33100L14larft_set_diagI19rocblas_complex_numIdEEEviPT_lS5_il,@function
_ZN9rocsolver6v33100L14larft_set_diagI19rocblas_complex_numIdEEEviPT_lS5_il: ; @_ZN9rocsolver6v33100L14larft_set_diagI19rocblas_complex_numIdEEEviPT_lS5_il
; %bb.0:
	s_load_dword s0, s[4:5], 0x3c
	s_load_dword s1, s[4:5], 0x0
	s_waitcnt lgkmcnt(0)
	s_and_b32 s0, s0, 0xffff
	s_mul_i32 s6, s6, s0
	v_add_u32_e32 v8, s6, v0
	v_cmp_gt_u32_e32 vcc, s1, v8
	s_and_saveexec_b64 s[0:1], vcc
	s_cbranch_execz .LBB59_6
; %bb.1:
	s_load_dwordx4 s[8:11], s[4:5], 0x8
	s_load_dwordx2 s[0:1], s[4:5], 0x18
	v_mov_b32_e32 v9, 0
	v_lshlrev_b64 v[0:1], 4, v[8:9]
	s_waitcnt lgkmcnt(0)
	s_mul_i32 s3, s11, s7
	s_mul_hi_u32 s6, s10, s7
	s_mul_i32 s2, s10, s7
	s_add_i32 s3, s6, s3
	s_lshl_b64 s[2:3], s[2:3], 4
	s_add_u32 s2, s8, s2
	s_addc_u32 s3, s9, s3
	v_mov_b32_e32 v2, s3
	v_add_co_u32_e32 v0, vcc, s2, v0
	v_addc_co_u32_e32 v1, vcc, v2, v1, vcc
	global_load_dwordx4 v[4:7], v[0:1], off
                                        ; implicit-def: $vgpr0_vgpr1
	s_waitcnt vmcnt(0)
	v_cmp_ngt_f64_e64 s[2:3], |v[4:5]|, |v[6:7]|
	s_and_saveexec_b64 s[8:9], s[2:3]
	s_xor_b64 s[2:3], exec, s[8:9]
	s_cbranch_execz .LBB59_3
; %bb.2:
	v_div_scale_f64 v[0:1], s[8:9], v[6:7], v[6:7], v[4:5]
	v_rcp_f64_e32 v[2:3], v[0:1]
	v_fma_f64 v[9:10], -v[0:1], v[2:3], 1.0
	v_fma_f64 v[2:3], v[2:3], v[9:10], v[2:3]
	v_div_scale_f64 v[9:10], vcc, v[4:5], v[6:7], v[4:5]
	v_fma_f64 v[11:12], -v[0:1], v[2:3], 1.0
	v_fma_f64 v[2:3], v[2:3], v[11:12], v[2:3]
	v_mul_f64 v[11:12], v[9:10], v[2:3]
	v_fma_f64 v[0:1], -v[0:1], v[11:12], v[9:10]
	v_div_fmas_f64 v[0:1], v[0:1], v[2:3], v[11:12]
	v_div_fixup_f64 v[0:1], v[0:1], v[6:7], v[4:5]
	v_fma_f64 v[2:3], v[4:5], v[0:1], v[6:7]
	v_div_scale_f64 v[4:5], s[8:9], v[2:3], v[2:3], 1.0
	v_div_scale_f64 v[11:12], vcc, 1.0, v[2:3], 1.0
	v_rcp_f64_e32 v[6:7], v[4:5]
	v_fma_f64 v[9:10], -v[4:5], v[6:7], 1.0
	v_fma_f64 v[6:7], v[6:7], v[9:10], v[6:7]
	v_fma_f64 v[9:10], -v[4:5], v[6:7], 1.0
	v_fma_f64 v[6:7], v[6:7], v[9:10], v[6:7]
	v_mul_f64 v[9:10], v[11:12], v[6:7]
	v_fma_f64 v[4:5], -v[4:5], v[9:10], v[11:12]
	v_div_fmas_f64 v[4:5], v[4:5], v[6:7], v[9:10]
	v_div_fixup_f64 v[2:3], v[4:5], v[2:3], 1.0
                                        ; implicit-def: $vgpr4_vgpr5
	v_mul_f64 v[0:1], v[0:1], v[2:3]
	v_xor_b32_e32 v3, 0x80000000, v3
.LBB59_3:
	s_andn2_saveexec_b64 s[2:3], s[2:3]
	s_cbranch_execz .LBB59_5
; %bb.4:
	v_div_scale_f64 v[0:1], s[8:9], v[4:5], v[4:5], v[6:7]
	v_rcp_f64_e32 v[2:3], v[0:1]
	v_fma_f64 v[9:10], -v[0:1], v[2:3], 1.0
	v_fma_f64 v[2:3], v[2:3], v[9:10], v[2:3]
	v_div_scale_f64 v[9:10], vcc, v[6:7], v[4:5], v[6:7]
	v_fma_f64 v[11:12], -v[0:1], v[2:3], 1.0
	v_fma_f64 v[2:3], v[2:3], v[11:12], v[2:3]
	v_mul_f64 v[11:12], v[9:10], v[2:3]
	v_fma_f64 v[0:1], -v[0:1], v[11:12], v[9:10]
	v_div_fmas_f64 v[0:1], v[0:1], v[2:3], v[11:12]
	v_div_fixup_f64 v[2:3], v[0:1], v[4:5], v[6:7]
	v_fma_f64 v[0:1], v[6:7], v[2:3], v[4:5]
	v_div_scale_f64 v[4:5], s[8:9], v[0:1], v[0:1], 1.0
	v_div_scale_f64 v[11:12], vcc, 1.0, v[0:1], 1.0
	v_rcp_f64_e32 v[6:7], v[4:5]
	v_fma_f64 v[9:10], -v[4:5], v[6:7], 1.0
	v_fma_f64 v[6:7], v[6:7], v[9:10], v[6:7]
	v_fma_f64 v[9:10], -v[4:5], v[6:7], 1.0
	v_fma_f64 v[6:7], v[6:7], v[9:10], v[6:7]
	v_mul_f64 v[9:10], v[11:12], v[6:7]
	v_fma_f64 v[4:5], -v[4:5], v[9:10], v[11:12]
	v_div_fmas_f64 v[4:5], v[4:5], v[6:7], v[9:10]
	v_div_fixup_f64 v[0:1], v[4:5], v[0:1], 1.0
	v_mul_f64 v[2:3], v[2:3], -v[0:1]
.LBB59_5:
	s_or_b64 exec, exec, s[2:3]
	s_load_dwordx2 s[2:3], s[4:5], 0x28
	s_load_dword s6, s[4:5], 0x20
	s_waitcnt lgkmcnt(0)
	s_mul_i32 s3, s3, s7
	s_mul_hi_u32 s4, s2, s7
	s_add_i32 s3, s4, s3
	v_mad_u64_u32 v[4:5], s[4:5], v8, s6, v[8:9]
	s_mul_i32 s2, s2, s7
	s_lshl_b64 s[2:3], s[2:3], 4
	v_mov_b32_e32 v5, 0
	s_add_u32 s0, s0, s2
	v_lshlrev_b64 v[4:5], 4, v[4:5]
	s_addc_u32 s1, s1, s3
	v_mov_b32_e32 v6, s1
	v_add_co_u32_e32 v4, vcc, s0, v4
	v_addc_co_u32_e32 v5, vcc, v6, v5, vcc
	global_store_dwordx4 v[4:5], v[0:3], off
.LBB59_6:
	s_endpgm
	.section	.rodata,"a",@progbits
	.p2align	6, 0x0
	.amdhsa_kernel _ZN9rocsolver6v33100L14larft_set_diagI19rocblas_complex_numIdEEEviPT_lS5_il
		.amdhsa_group_segment_fixed_size 0
		.amdhsa_private_segment_fixed_size 0
		.amdhsa_kernarg_size 304
		.amdhsa_user_sgpr_count 6
		.amdhsa_user_sgpr_private_segment_buffer 1
		.amdhsa_user_sgpr_dispatch_ptr 0
		.amdhsa_user_sgpr_queue_ptr 0
		.amdhsa_user_sgpr_kernarg_segment_ptr 1
		.amdhsa_user_sgpr_dispatch_id 0
		.amdhsa_user_sgpr_flat_scratch_init 0
		.amdhsa_user_sgpr_private_segment_size 0
		.amdhsa_uses_dynamic_stack 0
		.amdhsa_system_sgpr_private_segment_wavefront_offset 0
		.amdhsa_system_sgpr_workgroup_id_x 1
		.amdhsa_system_sgpr_workgroup_id_y 0
		.amdhsa_system_sgpr_workgroup_id_z 1
		.amdhsa_system_sgpr_workgroup_info 0
		.amdhsa_system_vgpr_workitem_id 0
		.amdhsa_next_free_vgpr 13
		.amdhsa_next_free_sgpr 12
		.amdhsa_reserve_vcc 1
		.amdhsa_reserve_flat_scratch 0
		.amdhsa_float_round_mode_32 0
		.amdhsa_float_round_mode_16_64 0
		.amdhsa_float_denorm_mode_32 3
		.amdhsa_float_denorm_mode_16_64 3
		.amdhsa_dx10_clamp 1
		.amdhsa_ieee_mode 1
		.amdhsa_fp16_overflow 0
		.amdhsa_exception_fp_ieee_invalid_op 0
		.amdhsa_exception_fp_denorm_src 0
		.amdhsa_exception_fp_ieee_div_zero 0
		.amdhsa_exception_fp_ieee_overflow 0
		.amdhsa_exception_fp_ieee_underflow 0
		.amdhsa_exception_fp_ieee_inexact 0
		.amdhsa_exception_int_div_zero 0
	.end_amdhsa_kernel
	.section	.text._ZN9rocsolver6v33100L14larft_set_diagI19rocblas_complex_numIdEEEviPT_lS5_il,"axG",@progbits,_ZN9rocsolver6v33100L14larft_set_diagI19rocblas_complex_numIdEEEviPT_lS5_il,comdat
.Lfunc_end59:
	.size	_ZN9rocsolver6v33100L14larft_set_diagI19rocblas_complex_numIdEEEviPT_lS5_il, .Lfunc_end59-_ZN9rocsolver6v33100L14larft_set_diagI19rocblas_complex_numIdEEEviPT_lS5_il
                                        ; -- End function
	.set _ZN9rocsolver6v33100L14larft_set_diagI19rocblas_complex_numIdEEEviPT_lS5_il.num_vgpr, 13
	.set _ZN9rocsolver6v33100L14larft_set_diagI19rocblas_complex_numIdEEEviPT_lS5_il.num_agpr, 0
	.set _ZN9rocsolver6v33100L14larft_set_diagI19rocblas_complex_numIdEEEviPT_lS5_il.numbered_sgpr, 12
	.set _ZN9rocsolver6v33100L14larft_set_diagI19rocblas_complex_numIdEEEviPT_lS5_il.num_named_barrier, 0
	.set _ZN9rocsolver6v33100L14larft_set_diagI19rocblas_complex_numIdEEEviPT_lS5_il.private_seg_size, 0
	.set _ZN9rocsolver6v33100L14larft_set_diagI19rocblas_complex_numIdEEEviPT_lS5_il.uses_vcc, 1
	.set _ZN9rocsolver6v33100L14larft_set_diagI19rocblas_complex_numIdEEEviPT_lS5_il.uses_flat_scratch, 0
	.set _ZN9rocsolver6v33100L14larft_set_diagI19rocblas_complex_numIdEEEviPT_lS5_il.has_dyn_sized_stack, 0
	.set _ZN9rocsolver6v33100L14larft_set_diagI19rocblas_complex_numIdEEEviPT_lS5_il.has_recursion, 0
	.set _ZN9rocsolver6v33100L14larft_set_diagI19rocblas_complex_numIdEEEviPT_lS5_il.has_indirect_call, 0
	.section	.AMDGPU.csdata,"",@progbits
; Kernel info:
; codeLenInByte = 632
; TotalNumSgprs: 16
; NumVgprs: 13
; ScratchSize: 0
; MemoryBound: 0
; FloatMode: 240
; IeeeMode: 1
; LDSByteSize: 0 bytes/workgroup (compile time only)
; SGPRBlocks: 1
; VGPRBlocks: 3
; NumSGPRsForWavesPerEU: 16
; NumVGPRsForWavesPerEU: 13
; Occupancy: 10
; WaveLimiterHint : 0
; COMPUTE_PGM_RSRC2:SCRATCH_EN: 0
; COMPUTE_PGM_RSRC2:USER_SGPR: 6
; COMPUTE_PGM_RSRC2:TRAP_HANDLER: 0
; COMPUTE_PGM_RSRC2:TGID_X_EN: 1
; COMPUTE_PGM_RSRC2:TGID_Y_EN: 0
; COMPUTE_PGM_RSRC2:TGID_Z_EN: 1
; COMPUTE_PGM_RSRC2:TIDIG_COMP_CNT: 0
	.section	.text._ZN9rocsolver6v33100L17larft_restore_triI19rocblas_complex_numIdEPKPS3_EEv13rocblas_fill_iT0_iilPT_,"axG",@progbits,_ZN9rocsolver6v33100L17larft_restore_triI19rocblas_complex_numIdEPKPS3_EEv13rocblas_fill_iT0_iilPT_,comdat
	.globl	_ZN9rocsolver6v33100L17larft_restore_triI19rocblas_complex_numIdEPKPS3_EEv13rocblas_fill_iT0_iilPT_ ; -- Begin function _ZN9rocsolver6v33100L17larft_restore_triI19rocblas_complex_numIdEPKPS3_EEv13rocblas_fill_iT0_iilPT_
	.p2align	8
	.type	_ZN9rocsolver6v33100L17larft_restore_triI19rocblas_complex_numIdEPKPS3_EEv13rocblas_fill_iT0_iilPT_,@function
_ZN9rocsolver6v33100L17larft_restore_triI19rocblas_complex_numIdEPKPS3_EEv13rocblas_fill_iT0_iilPT_: ; @_ZN9rocsolver6v33100L17larft_restore_triI19rocblas_complex_numIdEPKPS3_EEv13rocblas_fill_iT0_iilPT_
; %bb.0:
	s_load_dword s0, s[4:5], 0x34
	s_load_dwordx2 s[10:11], s[4:5], 0x0
	s_waitcnt lgkmcnt(0)
	s_lshr_b32 s1, s0, 16
	s_and_b32 s0, s0, 0xffff
	s_mul_i32 s7, s7, s1
	s_mul_i32 s6, s6, s0
	v_add_u32_e32 v1, s7, v1
	v_add_u32_e32 v0, s6, v0
	v_max_u32_e32 v2, v1, v0
	v_cmp_gt_u32_e32 vcc, s11, v2
	s_and_saveexec_b64 s[0:1], vcc
	s_cbranch_execz .LBB60_3
; %bb.1:
	s_cmpk_lg_i32 s10, 0x7a
	s_cselect_b64 s[0:1], -1, 0
	s_cmpk_lg_i32 s10, 0x79
	s_cselect_b64 s[2:3], -1, 0
	v_cmp_lt_u32_e32 vcc, v1, v0
	s_or_b64 s[2:3], s[2:3], vcc
	v_cmp_lt_u32_e32 vcc, v0, v1
	s_or_b64 s[0:1], s[0:1], vcc
	s_and_b64 s[0:1], s[2:3], s[0:1]
	s_xor_b64 s[0:1], s[0:1], -1
	s_and_b64 exec, exec, s[0:1]
	s_cbranch_execz .LBB60_3
; %bb.2:
	s_load_dwordx4 s[0:3], s[4:5], 0x8
	s_load_dwordx2 s[6:7], s[4:5], 0x20
	s_mov_b32 s9, 0
	s_ashr_i32 s10, s11, 31
	s_lshl_b64 s[4:5], s[8:9], 3
	s_waitcnt lgkmcnt(0)
	s_ashr_i32 s13, s2, 31
	s_add_u32 s0, s0, s4
	s_addc_u32 s1, s1, s5
	s_load_dwordx2 s[0:1], s[0:1], 0x0
	s_mov_b32 s12, s2
	s_lshl_b64 s[4:5], s[12:13], 4
	s_mul_hi_u32 s9, s11, s8
	s_mul_i32 s14, s10, s8
	s_waitcnt lgkmcnt(0)
	s_add_u32 s2, s0, s4
	s_mul_i32 s4, s11, s8
	s_addc_u32 s12, s1, s5
	s_add_i32 s0, s9, s14
	s_mul_i32 s1, s4, s10
	s_mul_hi_u32 s5, s4, s11
	s_add_i32 s1, s5, s1
	s_mul_i32 s0, s0, s11
	s_add_i32 s1, s1, s0
	s_mul_i32 s0, s4, s11
	v_mad_u64_u32 v[5:6], s[4:5], v1, s11, v[0:1]
	s_lshl_b64 s[0:1], s[0:1], 4
	v_mov_b32_e32 v6, 0
	s_add_u32 s0, s6, s0
	v_lshlrev_b64 v[2:3], 4, v[5:6]
	s_addc_u32 s1, s7, s1
	v_mov_b32_e32 v4, s1
	v_add_co_u32_e32 v2, vcc, s0, v2
	v_addc_co_u32_e32 v3, vcc, v4, v3, vcc
	global_load_dwordx4 v[2:5], v[2:3], off
	v_mad_u64_u32 v[0:1], s[0:1], v1, s3, v[0:1]
	v_mov_b32_e32 v1, v6
	v_mov_b32_e32 v6, s12
	v_lshlrev_b64 v[0:1], 4, v[0:1]
	v_add_co_u32_e32 v0, vcc, s2, v0
	v_addc_co_u32_e32 v1, vcc, v6, v1, vcc
	s_waitcnt vmcnt(0)
	flat_store_dwordx4 v[0:1], v[2:5]
.LBB60_3:
	s_endpgm
	.section	.rodata,"a",@progbits
	.p2align	6, 0x0
	.amdhsa_kernel _ZN9rocsolver6v33100L17larft_restore_triI19rocblas_complex_numIdEPKPS3_EEv13rocblas_fill_iT0_iilPT_
		.amdhsa_group_segment_fixed_size 0
		.amdhsa_private_segment_fixed_size 0
		.amdhsa_kernarg_size 296
		.amdhsa_user_sgpr_count 6
		.amdhsa_user_sgpr_private_segment_buffer 1
		.amdhsa_user_sgpr_dispatch_ptr 0
		.amdhsa_user_sgpr_queue_ptr 0
		.amdhsa_user_sgpr_kernarg_segment_ptr 1
		.amdhsa_user_sgpr_dispatch_id 0
		.amdhsa_user_sgpr_flat_scratch_init 0
		.amdhsa_user_sgpr_private_segment_size 0
		.amdhsa_uses_dynamic_stack 0
		.amdhsa_system_sgpr_private_segment_wavefront_offset 0
		.amdhsa_system_sgpr_workgroup_id_x 1
		.amdhsa_system_sgpr_workgroup_id_y 1
		.amdhsa_system_sgpr_workgroup_id_z 1
		.amdhsa_system_sgpr_workgroup_info 0
		.amdhsa_system_vgpr_workitem_id 1
		.amdhsa_next_free_vgpr 7
		.amdhsa_next_free_sgpr 15
		.amdhsa_reserve_vcc 1
		.amdhsa_reserve_flat_scratch 0
		.amdhsa_float_round_mode_32 0
		.amdhsa_float_round_mode_16_64 0
		.amdhsa_float_denorm_mode_32 3
		.amdhsa_float_denorm_mode_16_64 3
		.amdhsa_dx10_clamp 1
		.amdhsa_ieee_mode 1
		.amdhsa_fp16_overflow 0
		.amdhsa_exception_fp_ieee_invalid_op 0
		.amdhsa_exception_fp_denorm_src 0
		.amdhsa_exception_fp_ieee_div_zero 0
		.amdhsa_exception_fp_ieee_overflow 0
		.amdhsa_exception_fp_ieee_underflow 0
		.amdhsa_exception_fp_ieee_inexact 0
		.amdhsa_exception_int_div_zero 0
	.end_amdhsa_kernel
	.section	.text._ZN9rocsolver6v33100L17larft_restore_triI19rocblas_complex_numIdEPKPS3_EEv13rocblas_fill_iT0_iilPT_,"axG",@progbits,_ZN9rocsolver6v33100L17larft_restore_triI19rocblas_complex_numIdEPKPS3_EEv13rocblas_fill_iT0_iilPT_,comdat
.Lfunc_end60:
	.size	_ZN9rocsolver6v33100L17larft_restore_triI19rocblas_complex_numIdEPKPS3_EEv13rocblas_fill_iT0_iilPT_, .Lfunc_end60-_ZN9rocsolver6v33100L17larft_restore_triI19rocblas_complex_numIdEPKPS3_EEv13rocblas_fill_iT0_iilPT_
                                        ; -- End function
	.set _ZN9rocsolver6v33100L17larft_restore_triI19rocblas_complex_numIdEPKPS3_EEv13rocblas_fill_iT0_iilPT_.num_vgpr, 7
	.set _ZN9rocsolver6v33100L17larft_restore_triI19rocblas_complex_numIdEPKPS3_EEv13rocblas_fill_iT0_iilPT_.num_agpr, 0
	.set _ZN9rocsolver6v33100L17larft_restore_triI19rocblas_complex_numIdEPKPS3_EEv13rocblas_fill_iT0_iilPT_.numbered_sgpr, 15
	.set _ZN9rocsolver6v33100L17larft_restore_triI19rocblas_complex_numIdEPKPS3_EEv13rocblas_fill_iT0_iilPT_.num_named_barrier, 0
	.set _ZN9rocsolver6v33100L17larft_restore_triI19rocblas_complex_numIdEPKPS3_EEv13rocblas_fill_iT0_iilPT_.private_seg_size, 0
	.set _ZN9rocsolver6v33100L17larft_restore_triI19rocblas_complex_numIdEPKPS3_EEv13rocblas_fill_iT0_iilPT_.uses_vcc, 1
	.set _ZN9rocsolver6v33100L17larft_restore_triI19rocblas_complex_numIdEPKPS3_EEv13rocblas_fill_iT0_iilPT_.uses_flat_scratch, 0
	.set _ZN9rocsolver6v33100L17larft_restore_triI19rocblas_complex_numIdEPKPS3_EEv13rocblas_fill_iT0_iilPT_.has_dyn_sized_stack, 0
	.set _ZN9rocsolver6v33100L17larft_restore_triI19rocblas_complex_numIdEPKPS3_EEv13rocblas_fill_iT0_iilPT_.has_recursion, 0
	.set _ZN9rocsolver6v33100L17larft_restore_triI19rocblas_complex_numIdEPKPS3_EEv13rocblas_fill_iT0_iilPT_.has_indirect_call, 0
	.section	.AMDGPU.csdata,"",@progbits
; Kernel info:
; codeLenInByte = 324
; TotalNumSgprs: 19
; NumVgprs: 7
; ScratchSize: 0
; MemoryBound: 0
; FloatMode: 240
; IeeeMode: 1
; LDSByteSize: 0 bytes/workgroup (compile time only)
; SGPRBlocks: 2
; VGPRBlocks: 1
; NumSGPRsForWavesPerEU: 19
; NumVGPRsForWavesPerEU: 7
; Occupancy: 10
; WaveLimiterHint : 1
; COMPUTE_PGM_RSRC2:SCRATCH_EN: 0
; COMPUTE_PGM_RSRC2:USER_SGPR: 6
; COMPUTE_PGM_RSRC2:TRAP_HANDLER: 0
; COMPUTE_PGM_RSRC2:TGID_X_EN: 1
; COMPUTE_PGM_RSRC2:TGID_Y_EN: 1
; COMPUTE_PGM_RSRC2:TGID_Z_EN: 1
; COMPUTE_PGM_RSRC2:TIDIG_COMP_CNT: 1
	.section	.text._ZN9rocsolver6v33100L9copymatA1I19rocblas_complex_numIdEPKPS3_EEviiT0_iilPT_,"axG",@progbits,_ZN9rocsolver6v33100L9copymatA1I19rocblas_complex_numIdEPKPS3_EEviiT0_iilPT_,comdat
	.globl	_ZN9rocsolver6v33100L9copymatA1I19rocblas_complex_numIdEPKPS3_EEviiT0_iilPT_ ; -- Begin function _ZN9rocsolver6v33100L9copymatA1I19rocblas_complex_numIdEPKPS3_EEviiT0_iilPT_
	.p2align	8
	.type	_ZN9rocsolver6v33100L9copymatA1I19rocblas_complex_numIdEPKPS3_EEviiT0_iilPT_,@function
_ZN9rocsolver6v33100L9copymatA1I19rocblas_complex_numIdEPKPS3_EEviiT0_iilPT_: ; @_ZN9rocsolver6v33100L9copymatA1I19rocblas_complex_numIdEPKPS3_EEviiT0_iilPT_
; %bb.0:
	s_load_dword s0, s[4:5], 0x34
	s_load_dwordx2 s[2:3], s[4:5], 0x0
	s_waitcnt lgkmcnt(0)
	s_lshr_b32 s1, s0, 16
	s_and_b32 s0, s0, 0xffff
	s_mul_i32 s6, s6, s0
	s_mul_i32 s7, s7, s1
	v_add_u32_e32 v2, s6, v0
	v_add_u32_e32 v0, s7, v1
	v_cmp_gt_u32_e32 vcc, s2, v0
	v_cmp_gt_u32_e64 s[0:1], s3, v2
	s_and_b64 s[0:1], s[0:1], vcc
	s_and_saveexec_b64 s[6:7], s[0:1]
	s_cbranch_execz .LBB61_2
; %bb.1:
	s_load_dwordx4 s[12:15], s[4:5], 0x8
	s_load_dwordx2 s[0:1], s[4:5], 0x20
	s_ashr_i32 s4, s2, 31
	s_mul_hi_u32 s6, s2, s8
	s_mul_i32 s4, s4, s8
	s_ashr_i32 s5, s3, 31
	s_add_i32 s4, s6, s4
	s_mul_i32 s6, s2, s8
	s_mul_i32 s5, s6, s5
	s_mul_hi_u32 s7, s6, s3
	s_add_i32 s5, s7, s5
	s_mul_i32 s4, s4, s3
	s_add_i32 s5, s5, s4
	s_mul_i32 s4, s6, s3
	s_lshl_b64 s[4:5], s[4:5], 4
	s_mov_b32 s9, 0
	s_waitcnt lgkmcnt(0)
	s_add_u32 s3, s0, s4
	s_addc_u32 s10, s1, s5
	s_ashr_i32 s1, s14, 31
	s_lshl_b64 s[4:5], s[8:9], 3
	s_add_u32 s4, s12, s4
	s_addc_u32 s5, s13, s5
	s_load_dwordx2 s[4:5], s[4:5], 0x0
	v_mad_u64_u32 v[6:7], s[6:7], v2, s15, v[0:1]
	s_mov_b32 s0, s14
	s_lshl_b64 s[0:1], s[0:1], 4
	v_mov_b32_e32 v7, 0
	s_waitcnt lgkmcnt(0)
	s_add_u32 s0, s4, s0
	v_lshlrev_b64 v[3:4], 4, v[6:7]
	s_addc_u32 s1, s5, s1
	v_mov_b32_e32 v1, s1
	v_add_co_u32_e32 v3, vcc, s0, v3
	v_addc_co_u32_e32 v4, vcc, v1, v4, vcc
	flat_load_dwordx4 v[3:6], v[3:4]
	v_mad_u64_u32 v[0:1], s[0:1], v2, s2, v[0:1]
	v_mov_b32_e32 v1, v7
	v_mov_b32_e32 v2, s10
	v_lshlrev_b64 v[0:1], 4, v[0:1]
	v_add_co_u32_e32 v0, vcc, s3, v0
	v_addc_co_u32_e32 v1, vcc, v2, v1, vcc
	s_waitcnt vmcnt(0) lgkmcnt(0)
	global_store_dwordx4 v[0:1], v[3:6], off
.LBB61_2:
	s_endpgm
	.section	.rodata,"a",@progbits
	.p2align	6, 0x0
	.amdhsa_kernel _ZN9rocsolver6v33100L9copymatA1I19rocblas_complex_numIdEPKPS3_EEviiT0_iilPT_
		.amdhsa_group_segment_fixed_size 0
		.amdhsa_private_segment_fixed_size 0
		.amdhsa_kernarg_size 296
		.amdhsa_user_sgpr_count 6
		.amdhsa_user_sgpr_private_segment_buffer 1
		.amdhsa_user_sgpr_dispatch_ptr 0
		.amdhsa_user_sgpr_queue_ptr 0
		.amdhsa_user_sgpr_kernarg_segment_ptr 1
		.amdhsa_user_sgpr_dispatch_id 0
		.amdhsa_user_sgpr_flat_scratch_init 0
		.amdhsa_user_sgpr_private_segment_size 0
		.amdhsa_uses_dynamic_stack 0
		.amdhsa_system_sgpr_private_segment_wavefront_offset 0
		.amdhsa_system_sgpr_workgroup_id_x 1
		.amdhsa_system_sgpr_workgroup_id_y 1
		.amdhsa_system_sgpr_workgroup_id_z 1
		.amdhsa_system_sgpr_workgroup_info 0
		.amdhsa_system_vgpr_workitem_id 1
		.amdhsa_next_free_vgpr 8
		.amdhsa_next_free_sgpr 16
		.amdhsa_reserve_vcc 1
		.amdhsa_reserve_flat_scratch 0
		.amdhsa_float_round_mode_32 0
		.amdhsa_float_round_mode_16_64 0
		.amdhsa_float_denorm_mode_32 3
		.amdhsa_float_denorm_mode_16_64 3
		.amdhsa_dx10_clamp 1
		.amdhsa_ieee_mode 1
		.amdhsa_fp16_overflow 0
		.amdhsa_exception_fp_ieee_invalid_op 0
		.amdhsa_exception_fp_denorm_src 0
		.amdhsa_exception_fp_ieee_div_zero 0
		.amdhsa_exception_fp_ieee_overflow 0
		.amdhsa_exception_fp_ieee_underflow 0
		.amdhsa_exception_fp_ieee_inexact 0
		.amdhsa_exception_int_div_zero 0
	.end_amdhsa_kernel
	.section	.text._ZN9rocsolver6v33100L9copymatA1I19rocblas_complex_numIdEPKPS3_EEviiT0_iilPT_,"axG",@progbits,_ZN9rocsolver6v33100L9copymatA1I19rocblas_complex_numIdEPKPS3_EEviiT0_iilPT_,comdat
.Lfunc_end61:
	.size	_ZN9rocsolver6v33100L9copymatA1I19rocblas_complex_numIdEPKPS3_EEviiT0_iilPT_, .Lfunc_end61-_ZN9rocsolver6v33100L9copymatA1I19rocblas_complex_numIdEPKPS3_EEviiT0_iilPT_
                                        ; -- End function
	.set _ZN9rocsolver6v33100L9copymatA1I19rocblas_complex_numIdEPKPS3_EEviiT0_iilPT_.num_vgpr, 8
	.set _ZN9rocsolver6v33100L9copymatA1I19rocblas_complex_numIdEPKPS3_EEviiT0_iilPT_.num_agpr, 0
	.set _ZN9rocsolver6v33100L9copymatA1I19rocblas_complex_numIdEPKPS3_EEviiT0_iilPT_.numbered_sgpr, 16
	.set _ZN9rocsolver6v33100L9copymatA1I19rocblas_complex_numIdEPKPS3_EEviiT0_iilPT_.num_named_barrier, 0
	.set _ZN9rocsolver6v33100L9copymatA1I19rocblas_complex_numIdEPKPS3_EEviiT0_iilPT_.private_seg_size, 0
	.set _ZN9rocsolver6v33100L9copymatA1I19rocblas_complex_numIdEPKPS3_EEviiT0_iilPT_.uses_vcc, 1
	.set _ZN9rocsolver6v33100L9copymatA1I19rocblas_complex_numIdEPKPS3_EEviiT0_iilPT_.uses_flat_scratch, 0
	.set _ZN9rocsolver6v33100L9copymatA1I19rocblas_complex_numIdEPKPS3_EEviiT0_iilPT_.has_dyn_sized_stack, 0
	.set _ZN9rocsolver6v33100L9copymatA1I19rocblas_complex_numIdEPKPS3_EEviiT0_iilPT_.has_recursion, 0
	.set _ZN9rocsolver6v33100L9copymatA1I19rocblas_complex_numIdEPKPS3_EEviiT0_iilPT_.has_indirect_call, 0
	.section	.AMDGPU.csdata,"",@progbits
; Kernel info:
; codeLenInByte = 288
; TotalNumSgprs: 20
; NumVgprs: 8
; ScratchSize: 0
; MemoryBound: 0
; FloatMode: 240
; IeeeMode: 1
; LDSByteSize: 0 bytes/workgroup (compile time only)
; SGPRBlocks: 2
; VGPRBlocks: 1
; NumSGPRsForWavesPerEU: 20
; NumVGPRsForWavesPerEU: 8
; Occupancy: 10
; WaveLimiterHint : 0
; COMPUTE_PGM_RSRC2:SCRATCH_EN: 0
; COMPUTE_PGM_RSRC2:USER_SGPR: 6
; COMPUTE_PGM_RSRC2:TRAP_HANDLER: 0
; COMPUTE_PGM_RSRC2:TGID_X_EN: 1
; COMPUTE_PGM_RSRC2:TGID_Y_EN: 1
; COMPUTE_PGM_RSRC2:TGID_Z_EN: 1
; COMPUTE_PGM_RSRC2:TIDIG_COMP_CNT: 1
	.section	.text._ZN9rocsolver6v33100L8addmatA1I19rocblas_complex_numIdEPKPS3_EEviiT0_iilPT_,"axG",@progbits,_ZN9rocsolver6v33100L8addmatA1I19rocblas_complex_numIdEPKPS3_EEviiT0_iilPT_,comdat
	.globl	_ZN9rocsolver6v33100L8addmatA1I19rocblas_complex_numIdEPKPS3_EEviiT0_iilPT_ ; -- Begin function _ZN9rocsolver6v33100L8addmatA1I19rocblas_complex_numIdEPKPS3_EEviiT0_iilPT_
	.p2align	8
	.type	_ZN9rocsolver6v33100L8addmatA1I19rocblas_complex_numIdEPKPS3_EEviiT0_iilPT_,@function
_ZN9rocsolver6v33100L8addmatA1I19rocblas_complex_numIdEPKPS3_EEviiT0_iilPT_: ; @_ZN9rocsolver6v33100L8addmatA1I19rocblas_complex_numIdEPKPS3_EEviiT0_iilPT_
; %bb.0:
	s_load_dword s0, s[4:5], 0x34
	s_load_dwordx2 s[10:11], s[4:5], 0x0
	s_waitcnt lgkmcnt(0)
	s_lshr_b32 s1, s0, 16
	s_and_b32 s0, s0, 0xffff
	s_mul_i32 s6, s6, s0
	s_mul_i32 s7, s7, s1
	v_add_u32_e32 v2, s6, v0
	v_add_u32_e32 v0, s7, v1
	v_cmp_gt_u32_e32 vcc, s10, v0
	v_cmp_gt_u32_e64 s[0:1], s11, v2
	s_and_b64 s[0:1], s[0:1], vcc
	s_and_saveexec_b64 s[2:3], s[0:1]
	s_cbranch_execz .LBB62_2
; %bb.1:
	s_load_dwordx4 s[0:3], s[4:5], 0x8
	s_load_dwordx2 s[6:7], s[4:5], 0x20
	s_ashr_i32 s4, s10, 31
	s_mul_hi_u32 s12, s10, s8
	s_mul_i32 s4, s4, s8
	s_ashr_i32 s5, s11, 31
	s_add_i32 s4, s12, s4
	s_mul_i32 s12, s10, s8
	s_mul_i32 s5, s12, s5
	s_mul_hi_u32 s13, s12, s11
	s_add_i32 s5, s13, s5
	s_mul_i32 s4, s4, s11
	s_add_i32 s5, s5, s4
	s_mul_i32 s4, s12, s11
	s_lshl_b64 s[4:5], s[4:5], 4
	s_mov_b32 s9, 0
	s_waitcnt lgkmcnt(0)
	s_add_u32 s11, s6, s4
	s_addc_u32 s12, s7, s5
	s_ashr_i32 s5, s2, 31
	s_lshl_b64 s[6:7], s[8:9], 3
	s_add_u32 s0, s0, s6
	s_addc_u32 s1, s1, s7
	s_load_dwordx2 s[0:1], s[0:1], 0x0
	s_mov_b32 s4, s2
	s_lshl_b64 s[4:5], s[4:5], 4
	v_mad_u64_u32 v[3:4], s[6:7], v2, s10, v[0:1]
	s_waitcnt lgkmcnt(0)
	s_add_u32 s2, s0, s4
	s_addc_u32 s4, s1, s5
	v_mad_u64_u32 v[0:1], s[0:1], v2, s3, v[0:1]
	v_mov_b32_e32 v4, 0
	v_lshlrev_b64 v[5:6], 4, v[3:4]
	v_mov_b32_e32 v1, v4
	v_mov_b32_e32 v3, s12
	v_add_co_u32_e32 v8, vcc, s11, v5
	v_lshlrev_b64 v[0:1], 4, v[0:1]
	v_addc_co_u32_e32 v9, vcc, v3, v6, vcc
	v_mov_b32_e32 v2, s4
	v_add_co_u32_e32 v10, vcc, s2, v0
	v_addc_co_u32_e32 v11, vcc, v2, v1, vcc
	global_load_dwordx4 v[0:3], v[8:9], off
	flat_load_dwordx4 v[4:7], v[10:11]
	s_waitcnt vmcnt(0) lgkmcnt(0)
	v_add_f64 v[0:1], v[4:5], -v[0:1]
	v_add_f64 v[2:3], v[6:7], -v[2:3]
	flat_store_dwordx4 v[10:11], v[0:3]
.LBB62_2:
	s_endpgm
	.section	.rodata,"a",@progbits
	.p2align	6, 0x0
	.amdhsa_kernel _ZN9rocsolver6v33100L8addmatA1I19rocblas_complex_numIdEPKPS3_EEviiT0_iilPT_
		.amdhsa_group_segment_fixed_size 0
		.amdhsa_private_segment_fixed_size 0
		.amdhsa_kernarg_size 296
		.amdhsa_user_sgpr_count 6
		.amdhsa_user_sgpr_private_segment_buffer 1
		.amdhsa_user_sgpr_dispatch_ptr 0
		.amdhsa_user_sgpr_queue_ptr 0
		.amdhsa_user_sgpr_kernarg_segment_ptr 1
		.amdhsa_user_sgpr_dispatch_id 0
		.amdhsa_user_sgpr_flat_scratch_init 0
		.amdhsa_user_sgpr_private_segment_size 0
		.amdhsa_uses_dynamic_stack 0
		.amdhsa_system_sgpr_private_segment_wavefront_offset 0
		.amdhsa_system_sgpr_workgroup_id_x 1
		.amdhsa_system_sgpr_workgroup_id_y 1
		.amdhsa_system_sgpr_workgroup_id_z 1
		.amdhsa_system_sgpr_workgroup_info 0
		.amdhsa_system_vgpr_workitem_id 1
		.amdhsa_next_free_vgpr 12
		.amdhsa_next_free_sgpr 14
		.amdhsa_reserve_vcc 1
		.amdhsa_reserve_flat_scratch 0
		.amdhsa_float_round_mode_32 0
		.amdhsa_float_round_mode_16_64 0
		.amdhsa_float_denorm_mode_32 3
		.amdhsa_float_denorm_mode_16_64 3
		.amdhsa_dx10_clamp 1
		.amdhsa_ieee_mode 1
		.amdhsa_fp16_overflow 0
		.amdhsa_exception_fp_ieee_invalid_op 0
		.amdhsa_exception_fp_denorm_src 0
		.amdhsa_exception_fp_ieee_div_zero 0
		.amdhsa_exception_fp_ieee_overflow 0
		.amdhsa_exception_fp_ieee_underflow 0
		.amdhsa_exception_fp_ieee_inexact 0
		.amdhsa_exception_int_div_zero 0
	.end_amdhsa_kernel
	.section	.text._ZN9rocsolver6v33100L8addmatA1I19rocblas_complex_numIdEPKPS3_EEviiT0_iilPT_,"axG",@progbits,_ZN9rocsolver6v33100L8addmatA1I19rocblas_complex_numIdEPKPS3_EEviiT0_iilPT_,comdat
.Lfunc_end62:
	.size	_ZN9rocsolver6v33100L8addmatA1I19rocblas_complex_numIdEPKPS3_EEviiT0_iilPT_, .Lfunc_end62-_ZN9rocsolver6v33100L8addmatA1I19rocblas_complex_numIdEPKPS3_EEviiT0_iilPT_
                                        ; -- End function
	.set _ZN9rocsolver6v33100L8addmatA1I19rocblas_complex_numIdEPKPS3_EEviiT0_iilPT_.num_vgpr, 12
	.set _ZN9rocsolver6v33100L8addmatA1I19rocblas_complex_numIdEPKPS3_EEviiT0_iilPT_.num_agpr, 0
	.set _ZN9rocsolver6v33100L8addmatA1I19rocblas_complex_numIdEPKPS3_EEviiT0_iilPT_.numbered_sgpr, 14
	.set _ZN9rocsolver6v33100L8addmatA1I19rocblas_complex_numIdEPKPS3_EEviiT0_iilPT_.num_named_barrier, 0
	.set _ZN9rocsolver6v33100L8addmatA1I19rocblas_complex_numIdEPKPS3_EEviiT0_iilPT_.private_seg_size, 0
	.set _ZN9rocsolver6v33100L8addmatA1I19rocblas_complex_numIdEPKPS3_EEviiT0_iilPT_.uses_vcc, 1
	.set _ZN9rocsolver6v33100L8addmatA1I19rocblas_complex_numIdEPKPS3_EEviiT0_iilPT_.uses_flat_scratch, 0
	.set _ZN9rocsolver6v33100L8addmatA1I19rocblas_complex_numIdEPKPS3_EEviiT0_iilPT_.has_dyn_sized_stack, 0
	.set _ZN9rocsolver6v33100L8addmatA1I19rocblas_complex_numIdEPKPS3_EEviiT0_iilPT_.has_recursion, 0
	.set _ZN9rocsolver6v33100L8addmatA1I19rocblas_complex_numIdEPKPS3_EEviiT0_iilPT_.has_indirect_call, 0
	.section	.AMDGPU.csdata,"",@progbits
; Kernel info:
; codeLenInByte = 312
; TotalNumSgprs: 18
; NumVgprs: 12
; ScratchSize: 0
; MemoryBound: 0
; FloatMode: 240
; IeeeMode: 1
; LDSByteSize: 0 bytes/workgroup (compile time only)
; SGPRBlocks: 2
; VGPRBlocks: 2
; NumSGPRsForWavesPerEU: 18
; NumVGPRsForWavesPerEU: 12
; Occupancy: 10
; WaveLimiterHint : 1
; COMPUTE_PGM_RSRC2:SCRATCH_EN: 0
; COMPUTE_PGM_RSRC2:USER_SGPR: 6
; COMPUTE_PGM_RSRC2:TRAP_HANDLER: 0
; COMPUTE_PGM_RSRC2:TGID_X_EN: 1
; COMPUTE_PGM_RSRC2:TGID_Y_EN: 1
; COMPUTE_PGM_RSRC2:TGID_Z_EN: 1
; COMPUTE_PGM_RSRC2:TIDIG_COMP_CNT: 1
	.section	.text._ZN9rocsolver6v33100L18copy_array_to_ptrsI19rocblas_complex_numIdEEEvlPKPT_S5_,"axG",@progbits,_ZN9rocsolver6v33100L18copy_array_to_ptrsI19rocblas_complex_numIdEEEvlPKPT_S5_,comdat
	.globl	_ZN9rocsolver6v33100L18copy_array_to_ptrsI19rocblas_complex_numIdEEEvlPKPT_S5_ ; -- Begin function _ZN9rocsolver6v33100L18copy_array_to_ptrsI19rocblas_complex_numIdEEEvlPKPT_S5_
	.p2align	8
	.type	_ZN9rocsolver6v33100L18copy_array_to_ptrsI19rocblas_complex_numIdEEEvlPKPT_S5_,@function
_ZN9rocsolver6v33100L18copy_array_to_ptrsI19rocblas_complex_numIdEEEvlPKPT_S5_: ; @_ZN9rocsolver6v33100L18copy_array_to_ptrsI19rocblas_complex_numIdEEEvlPKPT_S5_
; %bb.0:
	s_mov_b32 s8, s7
	s_load_dword s7, s[4:5], 0x24
	s_load_dwordx4 s[0:3], s[4:5], 0x0
	s_waitcnt lgkmcnt(0)
	s_and_b32 s7, s7, 0xffff
	s_mul_i32 s6, s6, s7
	v_add_u32_e32 v0, s6, v0
	v_ashrrev_i32_e32 v1, 31, v0
	v_cmp_gt_i64_e32 vcc, s[0:1], v[0:1]
	s_and_saveexec_b64 s[6:7], vcc
	s_cbranch_execz .LBB63_2
; %bb.1:
	s_load_dwordx2 s[4:5], s[4:5], 0x10
	s_ashr_i32 s9, s8, 31
	s_mul_hi_u32 s6, s0, s8
	s_mul_i32 s7, s0, s9
	s_add_i32 s6, s6, s7
	s_mul_i32 s1, s1, s8
	s_add_i32 s1, s6, s1
	s_mul_i32 s0, s0, s8
	s_lshl_b64 s[0:1], s[0:1], 4
	s_waitcnt lgkmcnt(0)
	s_add_u32 s0, s4, s0
	v_lshlrev_b64 v[4:5], 4, v[0:1]
	s_addc_u32 s1, s5, s1
	v_mov_b32_e32 v1, s1
	v_add_co_u32_e32 v0, vcc, s0, v4
	v_addc_co_u32_e32 v1, vcc, v1, v5, vcc
	global_load_dwordx4 v[0:3], v[0:1], off
	s_lshl_b64 s[0:1], s[8:9], 3
	s_add_u32 s0, s2, s0
	s_addc_u32 s1, s3, s1
	s_load_dwordx2 s[0:1], s[0:1], 0x0
	s_waitcnt lgkmcnt(0)
	v_mov_b32_e32 v6, s1
	v_add_co_u32_e32 v4, vcc, s0, v4
	v_addc_co_u32_e32 v5, vcc, v6, v5, vcc
	s_waitcnt vmcnt(0)
	flat_store_dwordx4 v[4:5], v[0:3]
.LBB63_2:
	s_endpgm
	.section	.rodata,"a",@progbits
	.p2align	6, 0x0
	.amdhsa_kernel _ZN9rocsolver6v33100L18copy_array_to_ptrsI19rocblas_complex_numIdEEEvlPKPT_S5_
		.amdhsa_group_segment_fixed_size 0
		.amdhsa_private_segment_fixed_size 0
		.amdhsa_kernarg_size 280
		.amdhsa_user_sgpr_count 6
		.amdhsa_user_sgpr_private_segment_buffer 1
		.amdhsa_user_sgpr_dispatch_ptr 0
		.amdhsa_user_sgpr_queue_ptr 0
		.amdhsa_user_sgpr_kernarg_segment_ptr 1
		.amdhsa_user_sgpr_dispatch_id 0
		.amdhsa_user_sgpr_flat_scratch_init 0
		.amdhsa_user_sgpr_private_segment_size 0
		.amdhsa_uses_dynamic_stack 0
		.amdhsa_system_sgpr_private_segment_wavefront_offset 0
		.amdhsa_system_sgpr_workgroup_id_x 1
		.amdhsa_system_sgpr_workgroup_id_y 1
		.amdhsa_system_sgpr_workgroup_id_z 0
		.amdhsa_system_sgpr_workgroup_info 0
		.amdhsa_system_vgpr_workitem_id 0
		.amdhsa_next_free_vgpr 7
		.amdhsa_next_free_sgpr 10
		.amdhsa_reserve_vcc 1
		.amdhsa_reserve_flat_scratch 0
		.amdhsa_float_round_mode_32 0
		.amdhsa_float_round_mode_16_64 0
		.amdhsa_float_denorm_mode_32 3
		.amdhsa_float_denorm_mode_16_64 3
		.amdhsa_dx10_clamp 1
		.amdhsa_ieee_mode 1
		.amdhsa_fp16_overflow 0
		.amdhsa_exception_fp_ieee_invalid_op 0
		.amdhsa_exception_fp_denorm_src 0
		.amdhsa_exception_fp_ieee_div_zero 0
		.amdhsa_exception_fp_ieee_overflow 0
		.amdhsa_exception_fp_ieee_underflow 0
		.amdhsa_exception_fp_ieee_inexact 0
		.amdhsa_exception_int_div_zero 0
	.end_amdhsa_kernel
	.section	.text._ZN9rocsolver6v33100L18copy_array_to_ptrsI19rocblas_complex_numIdEEEvlPKPT_S5_,"axG",@progbits,_ZN9rocsolver6v33100L18copy_array_to_ptrsI19rocblas_complex_numIdEEEvlPKPT_S5_,comdat
.Lfunc_end63:
	.size	_ZN9rocsolver6v33100L18copy_array_to_ptrsI19rocblas_complex_numIdEEEvlPKPT_S5_, .Lfunc_end63-_ZN9rocsolver6v33100L18copy_array_to_ptrsI19rocblas_complex_numIdEEEvlPKPT_S5_
                                        ; -- End function
	.set _ZN9rocsolver6v33100L18copy_array_to_ptrsI19rocblas_complex_numIdEEEvlPKPT_S5_.num_vgpr, 7
	.set _ZN9rocsolver6v33100L18copy_array_to_ptrsI19rocblas_complex_numIdEEEvlPKPT_S5_.num_agpr, 0
	.set _ZN9rocsolver6v33100L18copy_array_to_ptrsI19rocblas_complex_numIdEEEvlPKPT_S5_.numbered_sgpr, 10
	.set _ZN9rocsolver6v33100L18copy_array_to_ptrsI19rocblas_complex_numIdEEEvlPKPT_S5_.num_named_barrier, 0
	.set _ZN9rocsolver6v33100L18copy_array_to_ptrsI19rocblas_complex_numIdEEEvlPKPT_S5_.private_seg_size, 0
	.set _ZN9rocsolver6v33100L18copy_array_to_ptrsI19rocblas_complex_numIdEEEvlPKPT_S5_.uses_vcc, 1
	.set _ZN9rocsolver6v33100L18copy_array_to_ptrsI19rocblas_complex_numIdEEEvlPKPT_S5_.uses_flat_scratch, 0
	.set _ZN9rocsolver6v33100L18copy_array_to_ptrsI19rocblas_complex_numIdEEEvlPKPT_S5_.has_dyn_sized_stack, 0
	.set _ZN9rocsolver6v33100L18copy_array_to_ptrsI19rocblas_complex_numIdEEEvlPKPT_S5_.has_recursion, 0
	.set _ZN9rocsolver6v33100L18copy_array_to_ptrsI19rocblas_complex_numIdEEEvlPKPT_S5_.has_indirect_call, 0
	.section	.AMDGPU.csdata,"",@progbits
; Kernel info:
; codeLenInByte = 188
; TotalNumSgprs: 14
; NumVgprs: 7
; ScratchSize: 0
; MemoryBound: 0
; FloatMode: 240
; IeeeMode: 1
; LDSByteSize: 0 bytes/workgroup (compile time only)
; SGPRBlocks: 1
; VGPRBlocks: 1
; NumSGPRsForWavesPerEU: 14
; NumVGPRsForWavesPerEU: 7
; Occupancy: 10
; WaveLimiterHint : 1
; COMPUTE_PGM_RSRC2:SCRATCH_EN: 0
; COMPUTE_PGM_RSRC2:USER_SGPR: 6
; COMPUTE_PGM_RSRC2:TRAP_HANDLER: 0
; COMPUTE_PGM_RSRC2:TGID_X_EN: 1
; COMPUTE_PGM_RSRC2:TGID_Y_EN: 1
; COMPUTE_PGM_RSRC2:TGID_Z_EN: 0
; COMPUTE_PGM_RSRC2:TIDIG_COMP_CNT: 0
	.section	.AMDGPU.gpr_maximums,"",@progbits
	.set amdgpu.max_num_vgpr, 0
	.set amdgpu.max_num_agpr, 0
	.set amdgpu.max_num_sgpr, 0
	.section	.AMDGPU.csdata,"",@progbits
	.type	__hip_cuid_eb451f3bddbdfa55,@object ; @__hip_cuid_eb451f3bddbdfa55
	.section	.bss,"aw",@nobits
	.globl	__hip_cuid_eb451f3bddbdfa55
__hip_cuid_eb451f3bddbdfa55:
	.byte	0                               ; 0x0
	.size	__hip_cuid_eb451f3bddbdfa55, 1

	.ident	"AMD clang version 22.0.0git (https://github.com/RadeonOpenCompute/llvm-project roc-7.2.4 26084 f58b06dce1f9c15707c5f808fd002e18c2accf7e)"
	.section	".note.GNU-stack","",@progbits
	.addrsig
	.addrsig_sym __hip_cuid_eb451f3bddbdfa55
	.amdgpu_metadata
---
amdhsa.kernels:
  - .args:
      - .address_space:  global
        .offset:         0
        .size:           8
        .value_kind:     global_buffer
      - .offset:         8
        .size:           4
        .value_kind:     by_value
      - .offset:         12
        .size:           4
        .value_kind:     by_value
    .group_segment_fixed_size: 0
    .kernarg_segment_align: 8
    .kernarg_segment_size: 16
    .language:       OpenCL C
    .language_version:
      - 2
      - 0
    .max_flat_workgroup_size: 32
    .name:           _ZN9rocsolver6v33100L6iota_nIfEEvPT_jS2_
    .private_segment_fixed_size: 0
    .sgpr_count:     10
    .sgpr_spill_count: 0
    .symbol:         _ZN9rocsolver6v33100L6iota_nIfEEvPT_jS2_.kd
    .uniform_work_group_size: 1
    .uses_dynamic_stack: false
    .vgpr_count:     2
    .vgpr_spill_count: 0
    .wavefront_size: 64
  - .args:
      - .offset:         0
        .size:           4
        .value_kind:     by_value
      - .offset:         4
        .size:           4
        .value_kind:     by_value
      - .address_space:  global
        .offset:         8
        .size:           8
        .value_kind:     global_buffer
      - .offset:         16
        .size:           8
        .value_kind:     by_value
      - .offset:         24
        .size:           4
        .value_kind:     by_value
      - .offset:         32
        .size:           8
        .value_kind:     by_value
      - .address_space:  global
        .offset:         40
        .size:           8
        .value_kind:     global_buffer
      - .offset:         48
        .size:           8
        .value_kind:     by_value
      - .address_space:  global
        .offset:         56
        .size:           8
        .value_kind:     global_buffer
      - .offset:         64
        .size:           8
        .value_kind:     by_value
    .group_segment_fixed_size: 0
    .kernarg_segment_align: 8
    .kernarg_segment_size: 72
    .language:       OpenCL C
    .language_version:
      - 2
      - 0
    .max_flat_workgroup_size: 256
    .name:           _ZN9rocsolver6v33100L18geqr2_kernel_smallILi256EfifPKPfEEvT1_S5_T3_lS5_lPT2_lPT0_l
    .private_segment_fixed_size: 0
    .sgpr_count:     52
    .sgpr_spill_count: 0
    .symbol:         _ZN9rocsolver6v33100L18geqr2_kernel_smallILi256EfifPKPfEEvT1_S5_T3_lS5_lPT2_lPT0_l.kd
    .uniform_work_group_size: 1
    .uses_dynamic_stack: false
    .vgpr_count:     28
    .vgpr_spill_count: 0
    .wavefront_size: 64
  - .args:
      - .address_space:  global
        .offset:         0
        .size:           8
        .value_kind:     global_buffer
      - .offset:         8
        .size:           8
        .value_kind:     by_value
      - .offset:         16
        .size:           4
        .value_kind:     by_value
      - .offset:         20
        .size:           4
        .value_kind:     by_value
      - .offset:         24
        .size:           4
        .value_kind:     hidden_block_count_x
      - .offset:         28
        .size:           4
        .value_kind:     hidden_block_count_y
      - .offset:         32
        .size:           4
        .value_kind:     hidden_block_count_z
      - .offset:         36
        .size:           2
        .value_kind:     hidden_group_size_x
      - .offset:         38
        .size:           2
        .value_kind:     hidden_group_size_y
      - .offset:         40
        .size:           2
        .value_kind:     hidden_group_size_z
      - .offset:         42
        .size:           2
        .value_kind:     hidden_remainder_x
      - .offset:         44
        .size:           2
        .value_kind:     hidden_remainder_y
      - .offset:         46
        .size:           2
        .value_kind:     hidden_remainder_z
      - .offset:         64
        .size:           8
        .value_kind:     hidden_global_offset_x
      - .offset:         72
        .size:           8
        .value_kind:     hidden_global_offset_y
      - .offset:         80
        .size:           8
        .value_kind:     hidden_global_offset_z
      - .offset:         88
        .size:           2
        .value_kind:     hidden_grid_dims
    .group_segment_fixed_size: 0
    .kernarg_segment_align: 8
    .kernarg_segment_size: 280
    .language:       OpenCL C
    .language_version:
      - 2
      - 0
    .max_flat_workgroup_size: 1024
    .name:           _ZN9rocsolver6v33100L16reset_batch_infoIfiiPfEEvT2_lT0_T1_
    .private_segment_fixed_size: 0
    .sgpr_count:     16
    .sgpr_spill_count: 0
    .symbol:         _ZN9rocsolver6v33100L16reset_batch_infoIfiiPfEEvT2_lT0_T1_.kd
    .uniform_work_group_size: 1
    .uses_dynamic_stack: false
    .vgpr_count:     4
    .vgpr_spill_count: 0
    .wavefront_size: 64
  - .args:
      - .address_space:  global
        .offset:         0
        .size:           8
        .value_kind:     global_buffer
      - .offset:         8
        .size:           8
        .value_kind:     by_value
      - .offset:         16
        .size:           8
        .value_kind:     by_value
      - .address_space:  global
        .offset:         24
        .size:           8
        .value_kind:     global_buffer
      - .offset:         32
        .size:           8
        .value_kind:     by_value
      - .offset:         40
        .size:           4
        .value_kind:     by_value
      - .offset:         48
        .size:           8
        .value_kind:     by_value
      - .offset:         56
        .size:           4
        .value_kind:     by_value
      - .offset:         60
        .size:           1
        .value_kind:     by_value
      - .offset:         64
        .size:           4
        .value_kind:     hidden_block_count_x
      - .offset:         68
        .size:           4
        .value_kind:     hidden_block_count_y
      - .offset:         72
        .size:           4
        .value_kind:     hidden_block_count_z
      - .offset:         76
        .size:           2
        .value_kind:     hidden_group_size_x
      - .offset:         78
        .size:           2
        .value_kind:     hidden_group_size_y
      - .offset:         80
        .size:           2
        .value_kind:     hidden_group_size_z
      - .offset:         82
        .size:           2
        .value_kind:     hidden_remainder_x
      - .offset:         84
        .size:           2
        .value_kind:     hidden_remainder_y
      - .offset:         86
        .size:           2
        .value_kind:     hidden_remainder_z
      - .offset:         104
        .size:           8
        .value_kind:     hidden_global_offset_x
      - .offset:         112
        .size:           8
        .value_kind:     hidden_global_offset_y
      - .offset:         120
        .size:           8
        .value_kind:     hidden_global_offset_z
      - .offset:         128
        .size:           2
        .value_kind:     hidden_grid_dims
    .group_segment_fixed_size: 0
    .kernarg_segment_align: 8
    .kernarg_segment_size: 320
    .language:       OpenCL C
    .language_version:
      - 2
      - 0
    .max_flat_workgroup_size: 1024
    .name:           _ZN9rocsolver6v33100L8set_diagIfifPKPfTnNSt9enable_ifIXoont18rocblas_is_complexIT_E18rocblas_is_complexIT1_EEiE4typeELi0EEEvPS7_llT2_lT0_lSC_b
    .private_segment_fixed_size: 0
    .sgpr_count:     21
    .sgpr_spill_count: 0
    .symbol:         _ZN9rocsolver6v33100L8set_diagIfifPKPfTnNSt9enable_ifIXoont18rocblas_is_complexIT_E18rocblas_is_complexIT1_EEiE4typeELi0EEEvPS7_llT2_lT0_lSC_b.kd
    .uniform_work_group_size: 1
    .uses_dynamic_stack: false
    .vgpr_count:     6
    .vgpr_spill_count: 0
    .wavefront_size: 64
  - .args:
      - .address_space:  global
        .offset:         0
        .size:           8
        .value_kind:     global_buffer
      - .offset:         8
        .size:           8
        .value_kind:     by_value
      - .address_space:  global
        .offset:         16
        .size:           8
        .value_kind:     global_buffer
      - .address_space:  global
        .offset:         24
        .size:           8
        .value_kind:     global_buffer
      - .offset:         32
        .size:           8
        .value_kind:     by_value
      - .offset:         40
        .size:           8
        .value_kind:     by_value
      - .address_space:  global
        .offset:         48
        .size:           8
        .value_kind:     global_buffer
      - .offset:         56
        .size:           8
        .value_kind:     by_value
      - .offset:         64
        .size:           8
        .value_kind:     by_value
    .group_segment_fixed_size: 0
    .kernarg_segment_align: 8
    .kernarg_segment_size: 72
    .language:       OpenCL C
    .language_version:
      - 2
      - 0
    .max_flat_workgroup_size: 1024
    .name:           _ZN9rocsolver6v33100L11set_taubetaIfifPKPfEEvPT_lS6_T2_llPT1_ll
    .private_segment_fixed_size: 0
    .sgpr_count:     26
    .sgpr_spill_count: 0
    .symbol:         _ZN9rocsolver6v33100L11set_taubetaIfifPKPfEEvPT_lS6_T2_llPT1_ll.kd
    .uniform_work_group_size: 1
    .uses_dynamic_stack: false
    .vgpr_count:     10
    .vgpr_spill_count: 0
    .wavefront_size: 64
  - .args:
      - .offset:         0
        .size:           4
        .value_kind:     by_value
      - .offset:         4
        .size:           4
        .value_kind:     by_value
      - .address_space:  global
        .offset:         8
        .size:           8
        .value_kind:     global_buffer
      - .offset:         16
        .size:           8
        .value_kind:     by_value
      - .offset:         24
        .size:           4
        .value_kind:     by_value
      - .offset:         32
        .size:           8
        .value_kind:     by_value
    .group_segment_fixed_size: 0
    .kernarg_segment_align: 8
    .kernarg_segment_size: 40
    .language:       OpenCL C
    .language_version:
      - 2
      - 0
    .max_flat_workgroup_size: 1024
    .name:           _ZN9rocsolver6v33100L13conj_in_placeIfiPfTnNSt9enable_ifIXnt18rocblas_is_complexIT_EEiE4typeELi0EEEvT0_S7_T1_lS7_l
    .private_segment_fixed_size: 0
    .sgpr_count:     4
    .sgpr_spill_count: 0
    .symbol:         _ZN9rocsolver6v33100L13conj_in_placeIfiPfTnNSt9enable_ifIXnt18rocblas_is_complexIT_EEiE4typeELi0EEEvT0_S7_T1_lS7_l.kd
    .uniform_work_group_size: 1
    .uses_dynamic_stack: false
    .vgpr_count:     0
    .vgpr_spill_count: 0
    .wavefront_size: 64
  - .args:
      - .offset:         0
        .size:           4
        .value_kind:     by_value
      - .offset:         4
        .size:           4
        .value_kind:     by_value
      - .address_space:  global
        .offset:         8
        .size:           8
        .value_kind:     global_buffer
      - .offset:         16
        .size:           8
        .value_kind:     by_value
      - .offset:         24
        .size:           4
        .value_kind:     by_value
      - .offset:         32
        .size:           8
        .value_kind:     by_value
      - .address_space:  global
        .offset:         40
        .size:           8
        .value_kind:     global_buffer
      - .offset:         48
        .size:           8
        .value_kind:     by_value
      - .address_space:  global
        .offset:         56
        .size:           8
        .value_kind:     global_buffer
      - .offset:         64
        .size:           8
        .value_kind:     by_value
      - .offset:         72
        .size:           4
        .value_kind:     by_value
      - .offset:         80
        .size:           8
        .value_kind:     by_value
    .group_segment_fixed_size: 0
    .kernarg_segment_align: 8
    .kernarg_segment_size: 88
    .language:       OpenCL C
    .language_version:
      - 2
      - 0
    .max_flat_workgroup_size: 1024
    .name:           _ZN9rocsolver6v33100L16larf_left_kernelILi1024EfiPKPfEEvT1_S5_T2_lS5_lPKT0_lS6_lS5_l
    .private_segment_fixed_size: 0
    .sgpr_count:     34
    .sgpr_spill_count: 0
    .symbol:         _ZN9rocsolver6v33100L16larf_left_kernelILi1024EfiPKPfEEvT1_S5_T2_lS5_lPKT0_lS6_lS5_l.kd
    .uniform_work_group_size: 1
    .uses_dynamic_stack: false
    .vgpr_count:     15
    .vgpr_spill_count: 0
    .wavefront_size: 64
  - .args:
      - .offset:         0
        .size:           4
        .value_kind:     by_value
      - .offset:         4
        .size:           4
        .value_kind:     by_value
      - .address_space:  global
        .offset:         8
        .size:           8
        .value_kind:     global_buffer
      - .offset:         16
        .size:           8
        .value_kind:     by_value
      - .offset:         24
        .size:           4
        .value_kind:     by_value
      - .offset:         32
        .size:           8
        .value_kind:     by_value
      - .address_space:  global
        .offset:         40
        .size:           8
        .value_kind:     global_buffer
      - .offset:         48
        .size:           8
        .value_kind:     by_value
      - .address_space:  global
        .offset:         56
        .size:           8
        .value_kind:     global_buffer
      - .offset:         64
        .size:           8
        .value_kind:     by_value
      - .offset:         72
        .size:           4
        .value_kind:     by_value
      - .offset:         80
        .size:           8
        .value_kind:     by_value
    .group_segment_fixed_size: 0
    .kernarg_segment_align: 8
    .kernarg_segment_size: 88
    .language:       OpenCL C
    .language_version:
      - 2
      - 0
    .max_flat_workgroup_size: 1024
    .name:           _ZN9rocsolver6v33100L17larf_right_kernelILi1024EfiPKPfEEvT1_S5_T2_lS5_lPKT0_lS6_lS5_l
    .private_segment_fixed_size: 0
    .sgpr_count:     34
    .sgpr_spill_count: 0
    .symbol:         _ZN9rocsolver6v33100L17larf_right_kernelILi1024EfiPKPfEEvT1_S5_T2_lS5_lPKT0_lS6_lS5_l.kd
    .uniform_work_group_size: 1
    .uses_dynamic_stack: false
    .vgpr_count:     15
    .vgpr_spill_count: 0
    .wavefront_size: 64
  - .args:
      - .address_space:  global
        .offset:         0
        .size:           8
        .value_kind:     global_buffer
      - .address_space:  global
        .offset:         8
        .size:           8
        .value_kind:     global_buffer
      - .offset:         16
        .size:           8
        .value_kind:     by_value
      - .offset:         24
        .size:           4
        .value_kind:     by_value
      - .offset:         32
        .size:           4
        .value_kind:     hidden_block_count_x
      - .offset:         36
        .size:           4
        .value_kind:     hidden_block_count_y
      - .offset:         40
        .size:           4
        .value_kind:     hidden_block_count_z
      - .offset:         44
        .size:           2
        .value_kind:     hidden_group_size_x
      - .offset:         46
        .size:           2
        .value_kind:     hidden_group_size_y
      - .offset:         48
        .size:           2
        .value_kind:     hidden_group_size_z
      - .offset:         50
        .size:           2
        .value_kind:     hidden_remainder_x
      - .offset:         52
        .size:           2
        .value_kind:     hidden_remainder_y
      - .offset:         54
        .size:           2
        .value_kind:     hidden_remainder_z
      - .offset:         72
        .size:           8
        .value_kind:     hidden_global_offset_x
      - .offset:         80
        .size:           8
        .value_kind:     hidden_global_offset_y
      - .offset:         88
        .size:           8
        .value_kind:     hidden_global_offset_z
      - .offset:         96
        .size:           2
        .value_kind:     hidden_grid_dims
    .group_segment_fixed_size: 0
    .kernarg_segment_align: 8
    .kernarg_segment_size: 288
    .language:       OpenCL C
    .language_version:
      - 2
      - 0
    .max_flat_workgroup_size: 1024
    .name:           _ZN9rocsolver6v33100L9get_arrayIfiEEvPPT_S3_lT0_
    .private_segment_fixed_size: 0
    .sgpr_count:     12
    .sgpr_spill_count: 0
    .symbol:         _ZN9rocsolver6v33100L9get_arrayIfiEEvPPT_S3_lT0_.kd
    .uniform_work_group_size: 1
    .uses_dynamic_stack: false
    .vgpr_count:     7
    .vgpr_spill_count: 0
    .wavefront_size: 64
  - .args:
      - .address_space:  global
        .offset:         0
        .size:           8
        .value_kind:     global_buffer
      - .offset:         8
        .size:           8
        .value_kind:     by_value
      - .offset:         16
        .size:           8
        .value_kind:     by_value
      - .address_space:  global
        .offset:         24
        .size:           8
        .value_kind:     global_buffer
      - .offset:         32
        .size:           8
        .value_kind:     by_value
      - .offset:         40
        .size:           4
        .value_kind:     by_value
      - .offset:         48
        .size:           8
        .value_kind:     by_value
      - .offset:         56
        .size:           4
        .value_kind:     by_value
      - .offset:         64
        .size:           4
        .value_kind:     hidden_block_count_x
      - .offset:         68
        .size:           4
        .value_kind:     hidden_block_count_y
      - .offset:         72
        .size:           4
        .value_kind:     hidden_block_count_z
      - .offset:         76
        .size:           2
        .value_kind:     hidden_group_size_x
      - .offset:         78
        .size:           2
        .value_kind:     hidden_group_size_y
      - .offset:         80
        .size:           2
        .value_kind:     hidden_group_size_z
      - .offset:         82
        .size:           2
        .value_kind:     hidden_remainder_x
      - .offset:         84
        .size:           2
        .value_kind:     hidden_remainder_y
      - .offset:         86
        .size:           2
        .value_kind:     hidden_remainder_z
      - .offset:         104
        .size:           8
        .value_kind:     hidden_global_offset_x
      - .offset:         112
        .size:           8
        .value_kind:     hidden_global_offset_y
      - .offset:         120
        .size:           8
        .value_kind:     hidden_global_offset_z
      - .offset:         128
        .size:           2
        .value_kind:     hidden_grid_dims
    .group_segment_fixed_size: 0
    .kernarg_segment_align: 8
    .kernarg_segment_size: 320
    .language:       OpenCL C
    .language_version:
      - 2
      - 0
    .max_flat_workgroup_size: 1024
    .name:           _ZN9rocsolver6v33100L12restore_diagIfifPKPfEEvPT1_llT2_lT0_lS8_
    .private_segment_fixed_size: 0
    .sgpr_count:     21
    .sgpr_spill_count: 0
    .symbol:         _ZN9rocsolver6v33100L12restore_diagIfifPKPfEEvPT1_llT2_lT0_lS8_.kd
    .uniform_work_group_size: 1
    .uses_dynamic_stack: false
    .vgpr_count:     5
    .vgpr_spill_count: 0
    .wavefront_size: 64
  - .args:
      - .offset:         0
        .size:           4
        .value_kind:     by_value
      - .offset:         4
        .size:           4
        .value_kind:     by_value
      - .address_space:  global
        .offset:         8
        .size:           8
        .value_kind:     global_buffer
      - .offset:         16
        .size:           4
        .value_kind:     by_value
      - .offset:         20
        .size:           4
        .value_kind:     by_value
      - .offset:         24
        .size:           8
        .value_kind:     by_value
      - .address_space:  global
        .offset:         32
        .size:           8
        .value_kind:     global_buffer
      - .offset:         40
        .size:           4
        .value_kind:     hidden_block_count_x
      - .offset:         44
        .size:           4
        .value_kind:     hidden_block_count_y
      - .offset:         48
        .size:           4
        .value_kind:     hidden_block_count_z
      - .offset:         52
        .size:           2
        .value_kind:     hidden_group_size_x
      - .offset:         54
        .size:           2
        .value_kind:     hidden_group_size_y
      - .offset:         56
        .size:           2
        .value_kind:     hidden_group_size_z
      - .offset:         58
        .size:           2
        .value_kind:     hidden_remainder_x
      - .offset:         60
        .size:           2
        .value_kind:     hidden_remainder_y
      - .offset:         62
        .size:           2
        .value_kind:     hidden_remainder_z
      - .offset:         80
        .size:           8
        .value_kind:     hidden_global_offset_x
      - .offset:         88
        .size:           8
        .value_kind:     hidden_global_offset_y
      - .offset:         96
        .size:           8
        .value_kind:     hidden_global_offset_z
      - .offset:         104
        .size:           2
        .value_kind:     hidden_grid_dims
    .group_segment_fixed_size: 0
    .kernarg_segment_align: 8
    .kernarg_segment_size: 296
    .language:       OpenCL C
    .language_version:
      - 2
      - 0
    .max_flat_workgroup_size: 1024
    .name:           _ZN9rocsolver6v33100L13larft_set_triIfPKPfEEv13rocblas_fill_iT0_iilPT_
    .private_segment_fixed_size: 0
    .sgpr_count:     20
    .sgpr_spill_count: 0
    .symbol:         _ZN9rocsolver6v33100L13larft_set_triIfPKPfEEv13rocblas_fill_iT0_iilPT_.kd
    .uniform_work_group_size: 1
    .uses_dynamic_stack: false
    .vgpr_count:     9
    .vgpr_spill_count: 0
    .wavefront_size: 64
  - .args:
      - .offset:         0
        .size:           4
        .value_kind:     by_value
      - .address_space:  global
        .offset:         8
        .size:           8
        .value_kind:     global_buffer
      - .offset:         16
        .size:           8
        .value_kind:     by_value
      - .address_space:  global
        .offset:         24
        .size:           8
        .value_kind:     global_buffer
      - .offset:         32
        .size:           4
        .value_kind:     by_value
      - .offset:         40
        .size:           8
        .value_kind:     by_value
      - .offset:         48
        .size:           4
        .value_kind:     hidden_block_count_x
      - .offset:         52
        .size:           4
        .value_kind:     hidden_block_count_y
      - .offset:         56
        .size:           4
        .value_kind:     hidden_block_count_z
      - .offset:         60
        .size:           2
        .value_kind:     hidden_group_size_x
      - .offset:         62
        .size:           2
        .value_kind:     hidden_group_size_y
      - .offset:         64
        .size:           2
        .value_kind:     hidden_group_size_z
      - .offset:         66
        .size:           2
        .value_kind:     hidden_remainder_x
      - .offset:         68
        .size:           2
        .value_kind:     hidden_remainder_y
      - .offset:         70
        .size:           2
        .value_kind:     hidden_remainder_z
      - .offset:         88
        .size:           8
        .value_kind:     hidden_global_offset_x
      - .offset:         96
        .size:           8
        .value_kind:     hidden_global_offset_y
      - .offset:         104
        .size:           8
        .value_kind:     hidden_global_offset_z
      - .offset:         112
        .size:           2
        .value_kind:     hidden_grid_dims
    .group_segment_fixed_size: 0
    .kernarg_segment_align: 8
    .kernarg_segment_size: 304
    .language:       OpenCL C
    .language_version:
      - 2
      - 0
    .max_flat_workgroup_size: 1024
    .name:           _ZN9rocsolver6v33100L14larft_set_diagIfEEviPT_lS3_il
    .private_segment_fixed_size: 0
    .sgpr_count:     14
    .sgpr_spill_count: 0
    .symbol:         _ZN9rocsolver6v33100L14larft_set_diagIfEEviPT_lS3_il.kd
    .uniform_work_group_size: 1
    .uses_dynamic_stack: false
    .vgpr_count:     8
    .vgpr_spill_count: 0
    .wavefront_size: 64
  - .args:
      - .offset:         0
        .size:           4
        .value_kind:     by_value
      - .offset:         4
        .size:           4
        .value_kind:     by_value
      - .address_space:  global
        .offset:         8
        .size:           8
        .value_kind:     global_buffer
      - .offset:         16
        .size:           4
        .value_kind:     by_value
      - .offset:         20
        .size:           4
        .value_kind:     by_value
      - .offset:         24
        .size:           8
        .value_kind:     by_value
      - .address_space:  global
        .offset:         32
        .size:           8
        .value_kind:     global_buffer
      - .offset:         40
        .size:           4
        .value_kind:     hidden_block_count_x
      - .offset:         44
        .size:           4
        .value_kind:     hidden_block_count_y
      - .offset:         48
        .size:           4
        .value_kind:     hidden_block_count_z
      - .offset:         52
        .size:           2
        .value_kind:     hidden_group_size_x
      - .offset:         54
        .size:           2
        .value_kind:     hidden_group_size_y
      - .offset:         56
        .size:           2
        .value_kind:     hidden_group_size_z
      - .offset:         58
        .size:           2
        .value_kind:     hidden_remainder_x
      - .offset:         60
        .size:           2
        .value_kind:     hidden_remainder_y
      - .offset:         62
        .size:           2
        .value_kind:     hidden_remainder_z
      - .offset:         80
        .size:           8
        .value_kind:     hidden_global_offset_x
      - .offset:         88
        .size:           8
        .value_kind:     hidden_global_offset_y
      - .offset:         96
        .size:           8
        .value_kind:     hidden_global_offset_z
      - .offset:         104
        .size:           2
        .value_kind:     hidden_grid_dims
    .group_segment_fixed_size: 0
    .kernarg_segment_align: 8
    .kernarg_segment_size: 296
    .language:       OpenCL C
    .language_version:
      - 2
      - 0
    .max_flat_workgroup_size: 1024
    .name:           _ZN9rocsolver6v33100L17larft_restore_triIfPKPfEEv13rocblas_fill_iT0_iilPT_
    .private_segment_fixed_size: 0
    .sgpr_count:     19
    .sgpr_spill_count: 0
    .symbol:         _ZN9rocsolver6v33100L17larft_restore_triIfPKPfEEv13rocblas_fill_iT0_iilPT_.kd
    .uniform_work_group_size: 1
    .uses_dynamic_stack: false
    .vgpr_count:     6
    .vgpr_spill_count: 0
    .wavefront_size: 64
  - .args:
      - .offset:         0
        .size:           4
        .value_kind:     by_value
      - .offset:         4
        .size:           4
        .value_kind:     by_value
      - .address_space:  global
        .offset:         8
        .size:           8
        .value_kind:     global_buffer
      - .offset:         16
        .size:           4
        .value_kind:     by_value
      - .offset:         20
        .size:           4
        .value_kind:     by_value
      - .offset:         24
        .size:           8
        .value_kind:     by_value
      - .address_space:  global
        .offset:         32
        .size:           8
        .value_kind:     global_buffer
      - .offset:         40
        .size:           4
        .value_kind:     hidden_block_count_x
      - .offset:         44
        .size:           4
        .value_kind:     hidden_block_count_y
      - .offset:         48
        .size:           4
        .value_kind:     hidden_block_count_z
      - .offset:         52
        .size:           2
        .value_kind:     hidden_group_size_x
      - .offset:         54
        .size:           2
        .value_kind:     hidden_group_size_y
      - .offset:         56
        .size:           2
        .value_kind:     hidden_group_size_z
      - .offset:         58
        .size:           2
        .value_kind:     hidden_remainder_x
      - .offset:         60
        .size:           2
        .value_kind:     hidden_remainder_y
      - .offset:         62
        .size:           2
        .value_kind:     hidden_remainder_z
      - .offset:         80
        .size:           8
        .value_kind:     hidden_global_offset_x
      - .offset:         88
        .size:           8
        .value_kind:     hidden_global_offset_y
      - .offset:         96
        .size:           8
        .value_kind:     hidden_global_offset_z
      - .offset:         104
        .size:           2
        .value_kind:     hidden_grid_dims
    .group_segment_fixed_size: 0
    .kernarg_segment_align: 8
    .kernarg_segment_size: 296
    .language:       OpenCL C
    .language_version:
      - 2
      - 0
    .max_flat_workgroup_size: 1024
    .name:           _ZN9rocsolver6v33100L9copymatA1IfPKPfEEviiT0_iilPT_
    .private_segment_fixed_size: 0
    .sgpr_count:     20
    .sgpr_spill_count: 0
    .symbol:         _ZN9rocsolver6v33100L9copymatA1IfPKPfEEviiT0_iilPT_.kd
    .uniform_work_group_size: 1
    .uses_dynamic_stack: false
    .vgpr_count:     7
    .vgpr_spill_count: 0
    .wavefront_size: 64
  - .args:
      - .offset:         0
        .size:           4
        .value_kind:     by_value
      - .offset:         4
        .size:           4
        .value_kind:     by_value
      - .address_space:  global
        .offset:         8
        .size:           8
        .value_kind:     global_buffer
      - .offset:         16
        .size:           4
        .value_kind:     by_value
      - .offset:         20
        .size:           4
        .value_kind:     by_value
      - .offset:         24
        .size:           8
        .value_kind:     by_value
      - .address_space:  global
        .offset:         32
        .size:           8
        .value_kind:     global_buffer
      - .offset:         40
        .size:           4
        .value_kind:     hidden_block_count_x
      - .offset:         44
        .size:           4
        .value_kind:     hidden_block_count_y
      - .offset:         48
        .size:           4
        .value_kind:     hidden_block_count_z
      - .offset:         52
        .size:           2
        .value_kind:     hidden_group_size_x
      - .offset:         54
        .size:           2
        .value_kind:     hidden_group_size_y
      - .offset:         56
        .size:           2
        .value_kind:     hidden_group_size_z
      - .offset:         58
        .size:           2
        .value_kind:     hidden_remainder_x
      - .offset:         60
        .size:           2
        .value_kind:     hidden_remainder_y
      - .offset:         62
        .size:           2
        .value_kind:     hidden_remainder_z
      - .offset:         80
        .size:           8
        .value_kind:     hidden_global_offset_x
      - .offset:         88
        .size:           8
        .value_kind:     hidden_global_offset_y
      - .offset:         96
        .size:           8
        .value_kind:     hidden_global_offset_z
      - .offset:         104
        .size:           2
        .value_kind:     hidden_grid_dims
    .group_segment_fixed_size: 0
    .kernarg_segment_align: 8
    .kernarg_segment_size: 296
    .language:       OpenCL C
    .language_version:
      - 2
      - 0
    .max_flat_workgroup_size: 1024
    .name:           _ZN9rocsolver6v33100L8addmatA1IfPKPfEEviiT0_iilPT_
    .private_segment_fixed_size: 0
    .sgpr_count:     18
    .sgpr_spill_count: 0
    .symbol:         _ZN9rocsolver6v33100L8addmatA1IfPKPfEEviiT0_iilPT_.kd
    .uniform_work_group_size: 1
    .uses_dynamic_stack: false
    .vgpr_count:     7
    .vgpr_spill_count: 0
    .wavefront_size: 64
  - .args:
      - .offset:         0
        .size:           8
        .value_kind:     by_value
      - .address_space:  global
        .offset:         8
        .size:           8
        .value_kind:     global_buffer
      - .address_space:  global
        .offset:         16
        .size:           8
        .value_kind:     global_buffer
      - .offset:         24
        .size:           4
        .value_kind:     hidden_block_count_x
      - .offset:         28
        .size:           4
        .value_kind:     hidden_block_count_y
      - .offset:         32
        .size:           4
        .value_kind:     hidden_block_count_z
      - .offset:         36
        .size:           2
        .value_kind:     hidden_group_size_x
      - .offset:         38
        .size:           2
        .value_kind:     hidden_group_size_y
      - .offset:         40
        .size:           2
        .value_kind:     hidden_group_size_z
      - .offset:         42
        .size:           2
        .value_kind:     hidden_remainder_x
      - .offset:         44
        .size:           2
        .value_kind:     hidden_remainder_y
      - .offset:         46
        .size:           2
        .value_kind:     hidden_remainder_z
      - .offset:         64
        .size:           8
        .value_kind:     hidden_global_offset_x
      - .offset:         72
        .size:           8
        .value_kind:     hidden_global_offset_y
      - .offset:         80
        .size:           8
        .value_kind:     hidden_global_offset_z
      - .offset:         88
        .size:           2
        .value_kind:     hidden_grid_dims
    .group_segment_fixed_size: 0
    .kernarg_segment_align: 8
    .kernarg_segment_size: 280
    .language:       OpenCL C
    .language_version:
      - 2
      - 0
    .max_flat_workgroup_size: 1024
    .name:           _ZN9rocsolver6v33100L18copy_array_to_ptrsIfEEvlPKPT_S3_
    .private_segment_fixed_size: 0
    .sgpr_count:     14
    .sgpr_spill_count: 0
    .symbol:         _ZN9rocsolver6v33100L18copy_array_to_ptrsIfEEvlPKPT_S3_.kd
    .uniform_work_group_size: 1
    .uses_dynamic_stack: false
    .vgpr_count:     4
    .vgpr_spill_count: 0
    .wavefront_size: 64
  - .args:
      - .address_space:  global
        .offset:         0
        .size:           8
        .value_kind:     global_buffer
      - .offset:         8
        .size:           4
        .value_kind:     by_value
      - .offset:         16
        .size:           8
        .value_kind:     by_value
    .group_segment_fixed_size: 0
    .kernarg_segment_align: 8
    .kernarg_segment_size: 24
    .language:       OpenCL C
    .language_version:
      - 2
      - 0
    .max_flat_workgroup_size: 32
    .name:           _ZN9rocsolver6v33100L6iota_nIdEEvPT_jS2_
    .private_segment_fixed_size: 0
    .sgpr_count:     10
    .sgpr_spill_count: 0
    .symbol:         _ZN9rocsolver6v33100L6iota_nIdEEvPT_jS2_.kd
    .uniform_work_group_size: 1
    .uses_dynamic_stack: false
    .vgpr_count:     3
    .vgpr_spill_count: 0
    .wavefront_size: 64
  - .args:
      - .offset:         0
        .size:           4
        .value_kind:     by_value
      - .offset:         4
        .size:           4
        .value_kind:     by_value
      - .address_space:  global
        .offset:         8
        .size:           8
        .value_kind:     global_buffer
      - .offset:         16
        .size:           8
        .value_kind:     by_value
      - .offset:         24
        .size:           4
        .value_kind:     by_value
      - .offset:         32
        .size:           8
        .value_kind:     by_value
      - .address_space:  global
        .offset:         40
        .size:           8
        .value_kind:     global_buffer
      - .offset:         48
        .size:           8
        .value_kind:     by_value
      - .address_space:  global
        .offset:         56
        .size:           8
        .value_kind:     global_buffer
      - .offset:         64
        .size:           8
        .value_kind:     by_value
    .group_segment_fixed_size: 0
    .kernarg_segment_align: 8
    .kernarg_segment_size: 72
    .language:       OpenCL C
    .language_version:
      - 2
      - 0
    .max_flat_workgroup_size: 256
    .name:           _ZN9rocsolver6v33100L18geqr2_kernel_smallILi256EdidPKPdEEvT1_S5_T3_lS5_lPT2_lPT0_l
    .private_segment_fixed_size: 0
    .sgpr_count:     52
    .sgpr_spill_count: 0
    .symbol:         _ZN9rocsolver6v33100L18geqr2_kernel_smallILi256EdidPKPdEEvT1_S5_T3_lS5_lPT2_lPT0_l.kd
    .uniform_work_group_size: 1
    .uses_dynamic_stack: false
    .vgpr_count:     38
    .vgpr_spill_count: 0
    .wavefront_size: 64
  - .args:
      - .address_space:  global
        .offset:         0
        .size:           8
        .value_kind:     global_buffer
      - .offset:         8
        .size:           8
        .value_kind:     by_value
      - .offset:         16
        .size:           4
        .value_kind:     by_value
      - .offset:         20
        .size:           4
        .value_kind:     by_value
      - .offset:         24
        .size:           4
        .value_kind:     hidden_block_count_x
      - .offset:         28
        .size:           4
        .value_kind:     hidden_block_count_y
      - .offset:         32
        .size:           4
        .value_kind:     hidden_block_count_z
      - .offset:         36
        .size:           2
        .value_kind:     hidden_group_size_x
      - .offset:         38
        .size:           2
        .value_kind:     hidden_group_size_y
      - .offset:         40
        .size:           2
        .value_kind:     hidden_group_size_z
      - .offset:         42
        .size:           2
        .value_kind:     hidden_remainder_x
      - .offset:         44
        .size:           2
        .value_kind:     hidden_remainder_y
      - .offset:         46
        .size:           2
        .value_kind:     hidden_remainder_z
      - .offset:         64
        .size:           8
        .value_kind:     hidden_global_offset_x
      - .offset:         72
        .size:           8
        .value_kind:     hidden_global_offset_y
      - .offset:         80
        .size:           8
        .value_kind:     hidden_global_offset_z
      - .offset:         88
        .size:           2
        .value_kind:     hidden_grid_dims
    .group_segment_fixed_size: 0
    .kernarg_segment_align: 8
    .kernarg_segment_size: 280
    .language:       OpenCL C
    .language_version:
      - 2
      - 0
    .max_flat_workgroup_size: 1024
    .name:           _ZN9rocsolver6v33100L16reset_batch_infoIdiiPdEEvT2_lT0_T1_
    .private_segment_fixed_size: 0
    .sgpr_count:     16
    .sgpr_spill_count: 0
    .symbol:         _ZN9rocsolver6v33100L16reset_batch_infoIdiiPdEEvT2_lT0_T1_.kd
    .uniform_work_group_size: 1
    .uses_dynamic_stack: false
    .vgpr_count:     5
    .vgpr_spill_count: 0
    .wavefront_size: 64
  - .args:
      - .address_space:  global
        .offset:         0
        .size:           8
        .value_kind:     global_buffer
      - .offset:         8
        .size:           8
        .value_kind:     by_value
      - .offset:         16
        .size:           8
        .value_kind:     by_value
      - .address_space:  global
        .offset:         24
        .size:           8
        .value_kind:     global_buffer
      - .offset:         32
        .size:           8
        .value_kind:     by_value
      - .offset:         40
        .size:           4
        .value_kind:     by_value
      - .offset:         48
        .size:           8
        .value_kind:     by_value
      - .offset:         56
        .size:           4
        .value_kind:     by_value
      - .offset:         60
        .size:           1
        .value_kind:     by_value
      - .offset:         64
        .size:           4
        .value_kind:     hidden_block_count_x
      - .offset:         68
        .size:           4
        .value_kind:     hidden_block_count_y
      - .offset:         72
        .size:           4
        .value_kind:     hidden_block_count_z
      - .offset:         76
        .size:           2
        .value_kind:     hidden_group_size_x
      - .offset:         78
        .size:           2
        .value_kind:     hidden_group_size_y
      - .offset:         80
        .size:           2
        .value_kind:     hidden_group_size_z
      - .offset:         82
        .size:           2
        .value_kind:     hidden_remainder_x
      - .offset:         84
        .size:           2
        .value_kind:     hidden_remainder_y
      - .offset:         86
        .size:           2
        .value_kind:     hidden_remainder_z
      - .offset:         104
        .size:           8
        .value_kind:     hidden_global_offset_x
      - .offset:         112
        .size:           8
        .value_kind:     hidden_global_offset_y
      - .offset:         120
        .size:           8
        .value_kind:     hidden_global_offset_z
      - .offset:         128
        .size:           2
        .value_kind:     hidden_grid_dims
    .group_segment_fixed_size: 0
    .kernarg_segment_align: 8
    .kernarg_segment_size: 320
    .language:       OpenCL C
    .language_version:
      - 2
      - 0
    .max_flat_workgroup_size: 1024
    .name:           _ZN9rocsolver6v33100L8set_diagIdidPKPdTnNSt9enable_ifIXoont18rocblas_is_complexIT_E18rocblas_is_complexIT1_EEiE4typeELi0EEEvPS7_llT2_lT0_lSC_b
    .private_segment_fixed_size: 0
    .sgpr_count:     21
    .sgpr_spill_count: 0
    .symbol:         _ZN9rocsolver6v33100L8set_diagIdidPKPdTnNSt9enable_ifIXoont18rocblas_is_complexIT_E18rocblas_is_complexIT1_EEiE4typeELi0EEEvPS7_llT2_lT0_lSC_b.kd
    .uniform_work_group_size: 1
    .uses_dynamic_stack: false
    .vgpr_count:     8
    .vgpr_spill_count: 0
    .wavefront_size: 64
  - .args:
      - .address_space:  global
        .offset:         0
        .size:           8
        .value_kind:     global_buffer
      - .offset:         8
        .size:           8
        .value_kind:     by_value
      - .address_space:  global
        .offset:         16
        .size:           8
        .value_kind:     global_buffer
      - .address_space:  global
        .offset:         24
        .size:           8
        .value_kind:     global_buffer
      - .offset:         32
        .size:           8
        .value_kind:     by_value
      - .offset:         40
        .size:           8
        .value_kind:     by_value
      - .address_space:  global
        .offset:         48
        .size:           8
        .value_kind:     global_buffer
      - .offset:         56
        .size:           8
        .value_kind:     by_value
      - .offset:         64
        .size:           8
        .value_kind:     by_value
    .group_segment_fixed_size: 0
    .kernarg_segment_align: 8
    .kernarg_segment_size: 72
    .language:       OpenCL C
    .language_version:
      - 2
      - 0
    .max_flat_workgroup_size: 1024
    .name:           _ZN9rocsolver6v33100L11set_taubetaIdidPKPdEEvPT_lS6_T2_llPT1_ll
    .private_segment_fixed_size: 0
    .sgpr_count:     28
    .sgpr_spill_count: 0
    .symbol:         _ZN9rocsolver6v33100L11set_taubetaIdidPKPdEEvPT_lS6_T2_llPT1_ll.kd
    .uniform_work_group_size: 1
    .uses_dynamic_stack: false
    .vgpr_count:     14
    .vgpr_spill_count: 0
    .wavefront_size: 64
  - .args:
      - .offset:         0
        .size:           4
        .value_kind:     by_value
      - .offset:         4
        .size:           4
        .value_kind:     by_value
      - .address_space:  global
        .offset:         8
        .size:           8
        .value_kind:     global_buffer
      - .offset:         16
        .size:           8
        .value_kind:     by_value
      - .offset:         24
        .size:           4
        .value_kind:     by_value
      - .offset:         32
        .size:           8
        .value_kind:     by_value
    .group_segment_fixed_size: 0
    .kernarg_segment_align: 8
    .kernarg_segment_size: 40
    .language:       OpenCL C
    .language_version:
      - 2
      - 0
    .max_flat_workgroup_size: 1024
    .name:           _ZN9rocsolver6v33100L13conj_in_placeIdiPdTnNSt9enable_ifIXnt18rocblas_is_complexIT_EEiE4typeELi0EEEvT0_S7_T1_lS7_l
    .private_segment_fixed_size: 0
    .sgpr_count:     4
    .sgpr_spill_count: 0
    .symbol:         _ZN9rocsolver6v33100L13conj_in_placeIdiPdTnNSt9enable_ifIXnt18rocblas_is_complexIT_EEiE4typeELi0EEEvT0_S7_T1_lS7_l.kd
    .uniform_work_group_size: 1
    .uses_dynamic_stack: false
    .vgpr_count:     0
    .vgpr_spill_count: 0
    .wavefront_size: 64
  - .args:
      - .offset:         0
        .size:           4
        .value_kind:     by_value
      - .offset:         4
        .size:           4
        .value_kind:     by_value
      - .address_space:  global
        .offset:         8
        .size:           8
        .value_kind:     global_buffer
      - .offset:         16
        .size:           8
        .value_kind:     by_value
      - .offset:         24
        .size:           4
        .value_kind:     by_value
      - .offset:         32
        .size:           8
        .value_kind:     by_value
      - .address_space:  global
        .offset:         40
        .size:           8
        .value_kind:     global_buffer
      - .offset:         48
        .size:           8
        .value_kind:     by_value
      - .address_space:  global
        .offset:         56
        .size:           8
        .value_kind:     global_buffer
      - .offset:         64
        .size:           8
        .value_kind:     by_value
      - .offset:         72
        .size:           4
        .value_kind:     by_value
      - .offset:         80
        .size:           8
        .value_kind:     by_value
    .group_segment_fixed_size: 0
    .kernarg_segment_align: 8
    .kernarg_segment_size: 88
    .language:       OpenCL C
    .language_version:
      - 2
      - 0
    .max_flat_workgroup_size: 1024
    .name:           _ZN9rocsolver6v33100L16larf_left_kernelILi1024EdiPKPdEEvT1_S5_T2_lS5_lPKT0_lS6_lS5_l
    .private_segment_fixed_size: 0
    .sgpr_count:     34
    .sgpr_spill_count: 0
    .symbol:         _ZN9rocsolver6v33100L16larf_left_kernelILi1024EdiPKPdEEvT1_S5_T2_lS5_lPKT0_lS6_lS5_l.kd
    .uniform_work_group_size: 1
    .uses_dynamic_stack: false
    .vgpr_count:     12
    .vgpr_spill_count: 0
    .wavefront_size: 64
  - .args:
      - .offset:         0
        .size:           4
        .value_kind:     by_value
      - .offset:         4
        .size:           4
        .value_kind:     by_value
      - .address_space:  global
        .offset:         8
        .size:           8
        .value_kind:     global_buffer
      - .offset:         16
        .size:           8
        .value_kind:     by_value
      - .offset:         24
        .size:           4
        .value_kind:     by_value
      - .offset:         32
        .size:           8
        .value_kind:     by_value
      - .address_space:  global
        .offset:         40
        .size:           8
        .value_kind:     global_buffer
      - .offset:         48
        .size:           8
        .value_kind:     by_value
      - .address_space:  global
        .offset:         56
        .size:           8
        .value_kind:     global_buffer
      - .offset:         64
        .size:           8
        .value_kind:     by_value
      - .offset:         72
        .size:           4
        .value_kind:     by_value
      - .offset:         80
        .size:           8
        .value_kind:     by_value
    .group_segment_fixed_size: 0
    .kernarg_segment_align: 8
    .kernarg_segment_size: 88
    .language:       OpenCL C
    .language_version:
      - 2
      - 0
    .max_flat_workgroup_size: 1024
    .name:           _ZN9rocsolver6v33100L17larf_right_kernelILi1024EdiPKPdEEvT1_S5_T2_lS5_lPKT0_lS6_lS5_l
    .private_segment_fixed_size: 0
    .sgpr_count:     36
    .sgpr_spill_count: 0
    .symbol:         _ZN9rocsolver6v33100L17larf_right_kernelILi1024EdiPKPdEEvT1_S5_T2_lS5_lPKT0_lS6_lS5_l.kd
    .uniform_work_group_size: 1
    .uses_dynamic_stack: false
    .vgpr_count:     15
    .vgpr_spill_count: 0
    .wavefront_size: 64
  - .args:
      - .address_space:  global
        .offset:         0
        .size:           8
        .value_kind:     global_buffer
      - .address_space:  global
        .offset:         8
        .size:           8
        .value_kind:     global_buffer
      - .offset:         16
        .size:           8
        .value_kind:     by_value
      - .offset:         24
        .size:           4
        .value_kind:     by_value
      - .offset:         32
        .size:           4
        .value_kind:     hidden_block_count_x
      - .offset:         36
        .size:           4
        .value_kind:     hidden_block_count_y
      - .offset:         40
        .size:           4
        .value_kind:     hidden_block_count_z
      - .offset:         44
        .size:           2
        .value_kind:     hidden_group_size_x
      - .offset:         46
        .size:           2
        .value_kind:     hidden_group_size_y
      - .offset:         48
        .size:           2
        .value_kind:     hidden_group_size_z
      - .offset:         50
        .size:           2
        .value_kind:     hidden_remainder_x
      - .offset:         52
        .size:           2
        .value_kind:     hidden_remainder_y
      - .offset:         54
        .size:           2
        .value_kind:     hidden_remainder_z
      - .offset:         72
        .size:           8
        .value_kind:     hidden_global_offset_x
      - .offset:         80
        .size:           8
        .value_kind:     hidden_global_offset_y
      - .offset:         88
        .size:           8
        .value_kind:     hidden_global_offset_z
      - .offset:         96
        .size:           2
        .value_kind:     hidden_grid_dims
    .group_segment_fixed_size: 0
    .kernarg_segment_align: 8
    .kernarg_segment_size: 288
    .language:       OpenCL C
    .language_version:
      - 2
      - 0
    .max_flat_workgroup_size: 1024
    .name:           _ZN9rocsolver6v33100L9get_arrayIdiEEvPPT_S3_lT0_
    .private_segment_fixed_size: 0
    .sgpr_count:     12
    .sgpr_spill_count: 0
    .symbol:         _ZN9rocsolver6v33100L9get_arrayIdiEEvPPT_S3_lT0_.kd
    .uniform_work_group_size: 1
    .uses_dynamic_stack: false
    .vgpr_count:     7
    .vgpr_spill_count: 0
    .wavefront_size: 64
  - .args:
      - .address_space:  global
        .offset:         0
        .size:           8
        .value_kind:     global_buffer
      - .offset:         8
        .size:           8
        .value_kind:     by_value
      - .offset:         16
        .size:           8
        .value_kind:     by_value
      - .address_space:  global
        .offset:         24
        .size:           8
        .value_kind:     global_buffer
      - .offset:         32
        .size:           8
        .value_kind:     by_value
      - .offset:         40
        .size:           4
        .value_kind:     by_value
      - .offset:         48
        .size:           8
        .value_kind:     by_value
      - .offset:         56
        .size:           4
        .value_kind:     by_value
      - .offset:         64
        .size:           4
        .value_kind:     hidden_block_count_x
      - .offset:         68
        .size:           4
        .value_kind:     hidden_block_count_y
      - .offset:         72
        .size:           4
        .value_kind:     hidden_block_count_z
      - .offset:         76
        .size:           2
        .value_kind:     hidden_group_size_x
      - .offset:         78
        .size:           2
        .value_kind:     hidden_group_size_y
      - .offset:         80
        .size:           2
        .value_kind:     hidden_group_size_z
      - .offset:         82
        .size:           2
        .value_kind:     hidden_remainder_x
      - .offset:         84
        .size:           2
        .value_kind:     hidden_remainder_y
      - .offset:         86
        .size:           2
        .value_kind:     hidden_remainder_z
      - .offset:         104
        .size:           8
        .value_kind:     hidden_global_offset_x
      - .offset:         112
        .size:           8
        .value_kind:     hidden_global_offset_y
      - .offset:         120
        .size:           8
        .value_kind:     hidden_global_offset_z
      - .offset:         128
        .size:           2
        .value_kind:     hidden_grid_dims
    .group_segment_fixed_size: 0
    .kernarg_segment_align: 8
    .kernarg_segment_size: 320
    .language:       OpenCL C
    .language_version:
      - 2
      - 0
    .max_flat_workgroup_size: 1024
    .name:           _ZN9rocsolver6v33100L12restore_diagIdidPKPdEEvPT1_llT2_lT0_lS8_
    .private_segment_fixed_size: 0
    .sgpr_count:     21
    .sgpr_spill_count: 0
    .symbol:         _ZN9rocsolver6v33100L12restore_diagIdidPKPdEEvPT1_llT2_lT0_lS8_.kd
    .uniform_work_group_size: 1
    .uses_dynamic_stack: false
    .vgpr_count:     5
    .vgpr_spill_count: 0
    .wavefront_size: 64
  - .args:
      - .offset:         0
        .size:           4
        .value_kind:     by_value
      - .offset:         4
        .size:           4
        .value_kind:     by_value
      - .address_space:  global
        .offset:         8
        .size:           8
        .value_kind:     global_buffer
      - .offset:         16
        .size:           4
        .value_kind:     by_value
      - .offset:         20
        .size:           4
        .value_kind:     by_value
      - .offset:         24
        .size:           8
        .value_kind:     by_value
      - .address_space:  global
        .offset:         32
        .size:           8
        .value_kind:     global_buffer
      - .offset:         40
        .size:           4
        .value_kind:     hidden_block_count_x
      - .offset:         44
        .size:           4
        .value_kind:     hidden_block_count_y
      - .offset:         48
        .size:           4
        .value_kind:     hidden_block_count_z
      - .offset:         52
        .size:           2
        .value_kind:     hidden_group_size_x
      - .offset:         54
        .size:           2
        .value_kind:     hidden_group_size_y
      - .offset:         56
        .size:           2
        .value_kind:     hidden_group_size_z
      - .offset:         58
        .size:           2
        .value_kind:     hidden_remainder_x
      - .offset:         60
        .size:           2
        .value_kind:     hidden_remainder_y
      - .offset:         62
        .size:           2
        .value_kind:     hidden_remainder_z
      - .offset:         80
        .size:           8
        .value_kind:     hidden_global_offset_x
      - .offset:         88
        .size:           8
        .value_kind:     hidden_global_offset_y
      - .offset:         96
        .size:           8
        .value_kind:     hidden_global_offset_z
      - .offset:         104
        .size:           2
        .value_kind:     hidden_grid_dims
    .group_segment_fixed_size: 0
    .kernarg_segment_align: 8
    .kernarg_segment_size: 296
    .language:       OpenCL C
    .language_version:
      - 2
      - 0
    .max_flat_workgroup_size: 1024
    .name:           _ZN9rocsolver6v33100L13larft_set_triIdPKPdEEv13rocblas_fill_iT0_iilPT_
    .private_segment_fixed_size: 0
    .sgpr_count:     20
    .sgpr_spill_count: 0
    .symbol:         _ZN9rocsolver6v33100L13larft_set_triIdPKPdEEv13rocblas_fill_iT0_iilPT_.kd
    .uniform_work_group_size: 1
    .uses_dynamic_stack: false
    .vgpr_count:     10
    .vgpr_spill_count: 0
    .wavefront_size: 64
  - .args:
      - .offset:         0
        .size:           4
        .value_kind:     by_value
      - .address_space:  global
        .offset:         8
        .size:           8
        .value_kind:     global_buffer
      - .offset:         16
        .size:           8
        .value_kind:     by_value
      - .address_space:  global
        .offset:         24
        .size:           8
        .value_kind:     global_buffer
      - .offset:         32
        .size:           4
        .value_kind:     by_value
      - .offset:         40
        .size:           8
        .value_kind:     by_value
      - .offset:         48
        .size:           4
        .value_kind:     hidden_block_count_x
      - .offset:         52
        .size:           4
        .value_kind:     hidden_block_count_y
      - .offset:         56
        .size:           4
        .value_kind:     hidden_block_count_z
      - .offset:         60
        .size:           2
        .value_kind:     hidden_group_size_x
      - .offset:         62
        .size:           2
        .value_kind:     hidden_group_size_y
      - .offset:         64
        .size:           2
        .value_kind:     hidden_group_size_z
      - .offset:         66
        .size:           2
        .value_kind:     hidden_remainder_x
      - .offset:         68
        .size:           2
        .value_kind:     hidden_remainder_y
      - .offset:         70
        .size:           2
        .value_kind:     hidden_remainder_z
      - .offset:         88
        .size:           8
        .value_kind:     hidden_global_offset_x
      - .offset:         96
        .size:           8
        .value_kind:     hidden_global_offset_y
      - .offset:         104
        .size:           8
        .value_kind:     hidden_global_offset_z
      - .offset:         112
        .size:           2
        .value_kind:     hidden_grid_dims
    .group_segment_fixed_size: 0
    .kernarg_segment_align: 8
    .kernarg_segment_size: 304
    .language:       OpenCL C
    .language_version:
      - 2
      - 0
    .max_flat_workgroup_size: 1024
    .name:           _ZN9rocsolver6v33100L14larft_set_diagIdEEviPT_lS3_il
    .private_segment_fixed_size: 0
    .sgpr_count:     14
    .sgpr_spill_count: 0
    .symbol:         _ZN9rocsolver6v33100L14larft_set_diagIdEEviPT_lS3_il.kd
    .uniform_work_group_size: 1
    .uses_dynamic_stack: false
    .vgpr_count:     12
    .vgpr_spill_count: 0
    .wavefront_size: 64
  - .args:
      - .offset:         0
        .size:           4
        .value_kind:     by_value
      - .offset:         4
        .size:           4
        .value_kind:     by_value
      - .address_space:  global
        .offset:         8
        .size:           8
        .value_kind:     global_buffer
      - .offset:         16
        .size:           4
        .value_kind:     by_value
      - .offset:         20
        .size:           4
        .value_kind:     by_value
      - .offset:         24
        .size:           8
        .value_kind:     by_value
      - .address_space:  global
        .offset:         32
        .size:           8
        .value_kind:     global_buffer
      - .offset:         40
        .size:           4
        .value_kind:     hidden_block_count_x
      - .offset:         44
        .size:           4
        .value_kind:     hidden_block_count_y
      - .offset:         48
        .size:           4
        .value_kind:     hidden_block_count_z
      - .offset:         52
        .size:           2
        .value_kind:     hidden_group_size_x
      - .offset:         54
        .size:           2
        .value_kind:     hidden_group_size_y
      - .offset:         56
        .size:           2
        .value_kind:     hidden_group_size_z
      - .offset:         58
        .size:           2
        .value_kind:     hidden_remainder_x
      - .offset:         60
        .size:           2
        .value_kind:     hidden_remainder_y
      - .offset:         62
        .size:           2
        .value_kind:     hidden_remainder_z
      - .offset:         80
        .size:           8
        .value_kind:     hidden_global_offset_x
      - .offset:         88
        .size:           8
        .value_kind:     hidden_global_offset_y
      - .offset:         96
        .size:           8
        .value_kind:     hidden_global_offset_z
      - .offset:         104
        .size:           2
        .value_kind:     hidden_grid_dims
    .group_segment_fixed_size: 0
    .kernarg_segment_align: 8
    .kernarg_segment_size: 296
    .language:       OpenCL C
    .language_version:
      - 2
      - 0
    .max_flat_workgroup_size: 1024
    .name:           _ZN9rocsolver6v33100L17larft_restore_triIdPKPdEEv13rocblas_fill_iT0_iilPT_
    .private_segment_fixed_size: 0
    .sgpr_count:     19
    .sgpr_spill_count: 0
    .symbol:         _ZN9rocsolver6v33100L17larft_restore_triIdPKPdEEv13rocblas_fill_iT0_iilPT_.kd
    .uniform_work_group_size: 1
    .uses_dynamic_stack: false
    .vgpr_count:     6
    .vgpr_spill_count: 0
    .wavefront_size: 64
  - .args:
      - .offset:         0
        .size:           4
        .value_kind:     by_value
      - .offset:         4
        .size:           4
        .value_kind:     by_value
      - .address_space:  global
        .offset:         8
        .size:           8
        .value_kind:     global_buffer
      - .offset:         16
        .size:           4
        .value_kind:     by_value
      - .offset:         20
        .size:           4
        .value_kind:     by_value
      - .offset:         24
        .size:           8
        .value_kind:     by_value
      - .address_space:  global
        .offset:         32
        .size:           8
        .value_kind:     global_buffer
      - .offset:         40
        .size:           4
        .value_kind:     hidden_block_count_x
      - .offset:         44
        .size:           4
        .value_kind:     hidden_block_count_y
      - .offset:         48
        .size:           4
        .value_kind:     hidden_block_count_z
      - .offset:         52
        .size:           2
        .value_kind:     hidden_group_size_x
      - .offset:         54
        .size:           2
        .value_kind:     hidden_group_size_y
      - .offset:         56
        .size:           2
        .value_kind:     hidden_group_size_z
      - .offset:         58
        .size:           2
        .value_kind:     hidden_remainder_x
      - .offset:         60
        .size:           2
        .value_kind:     hidden_remainder_y
      - .offset:         62
        .size:           2
        .value_kind:     hidden_remainder_z
      - .offset:         80
        .size:           8
        .value_kind:     hidden_global_offset_x
      - .offset:         88
        .size:           8
        .value_kind:     hidden_global_offset_y
      - .offset:         96
        .size:           8
        .value_kind:     hidden_global_offset_z
      - .offset:         104
        .size:           2
        .value_kind:     hidden_grid_dims
    .group_segment_fixed_size: 0
    .kernarg_segment_align: 8
    .kernarg_segment_size: 296
    .language:       OpenCL C
    .language_version:
      - 2
      - 0
    .max_flat_workgroup_size: 1024
    .name:           _ZN9rocsolver6v33100L9copymatA1IdPKPdEEviiT0_iilPT_
    .private_segment_fixed_size: 0
    .sgpr_count:     20
    .sgpr_spill_count: 0
    .symbol:         _ZN9rocsolver6v33100L9copymatA1IdPKPdEEviiT0_iilPT_.kd
    .uniform_work_group_size: 1
    .uses_dynamic_stack: false
    .vgpr_count:     7
    .vgpr_spill_count: 0
    .wavefront_size: 64
  - .args:
      - .offset:         0
        .size:           4
        .value_kind:     by_value
      - .offset:         4
        .size:           4
        .value_kind:     by_value
      - .address_space:  global
        .offset:         8
        .size:           8
        .value_kind:     global_buffer
      - .offset:         16
        .size:           4
        .value_kind:     by_value
      - .offset:         20
        .size:           4
        .value_kind:     by_value
      - .offset:         24
        .size:           8
        .value_kind:     by_value
      - .address_space:  global
        .offset:         32
        .size:           8
        .value_kind:     global_buffer
      - .offset:         40
        .size:           4
        .value_kind:     hidden_block_count_x
      - .offset:         44
        .size:           4
        .value_kind:     hidden_block_count_y
      - .offset:         48
        .size:           4
        .value_kind:     hidden_block_count_z
      - .offset:         52
        .size:           2
        .value_kind:     hidden_group_size_x
      - .offset:         54
        .size:           2
        .value_kind:     hidden_group_size_y
      - .offset:         56
        .size:           2
        .value_kind:     hidden_group_size_z
      - .offset:         58
        .size:           2
        .value_kind:     hidden_remainder_x
      - .offset:         60
        .size:           2
        .value_kind:     hidden_remainder_y
      - .offset:         62
        .size:           2
        .value_kind:     hidden_remainder_z
      - .offset:         80
        .size:           8
        .value_kind:     hidden_global_offset_x
      - .offset:         88
        .size:           8
        .value_kind:     hidden_global_offset_y
      - .offset:         96
        .size:           8
        .value_kind:     hidden_global_offset_z
      - .offset:         104
        .size:           2
        .value_kind:     hidden_grid_dims
    .group_segment_fixed_size: 0
    .kernarg_segment_align: 8
    .kernarg_segment_size: 296
    .language:       OpenCL C
    .language_version:
      - 2
      - 0
    .max_flat_workgroup_size: 1024
    .name:           _ZN9rocsolver6v33100L8addmatA1IdPKPdEEviiT0_iilPT_
    .private_segment_fixed_size: 0
    .sgpr_count:     18
    .sgpr_spill_count: 0
    .symbol:         _ZN9rocsolver6v33100L8addmatA1IdPKPdEEviiT0_iilPT_.kd
    .uniform_work_group_size: 1
    .uses_dynamic_stack: false
    .vgpr_count:     7
    .vgpr_spill_count: 0
    .wavefront_size: 64
  - .args:
      - .offset:         0
        .size:           8
        .value_kind:     by_value
      - .address_space:  global
        .offset:         8
        .size:           8
        .value_kind:     global_buffer
      - .address_space:  global
        .offset:         16
        .size:           8
        .value_kind:     global_buffer
      - .offset:         24
        .size:           4
        .value_kind:     hidden_block_count_x
      - .offset:         28
        .size:           4
        .value_kind:     hidden_block_count_y
      - .offset:         32
        .size:           4
        .value_kind:     hidden_block_count_z
      - .offset:         36
        .size:           2
        .value_kind:     hidden_group_size_x
      - .offset:         38
        .size:           2
        .value_kind:     hidden_group_size_y
      - .offset:         40
        .size:           2
        .value_kind:     hidden_group_size_z
      - .offset:         42
        .size:           2
        .value_kind:     hidden_remainder_x
      - .offset:         44
        .size:           2
        .value_kind:     hidden_remainder_y
      - .offset:         46
        .size:           2
        .value_kind:     hidden_remainder_z
      - .offset:         64
        .size:           8
        .value_kind:     hidden_global_offset_x
      - .offset:         72
        .size:           8
        .value_kind:     hidden_global_offset_y
      - .offset:         80
        .size:           8
        .value_kind:     hidden_global_offset_z
      - .offset:         88
        .size:           2
        .value_kind:     hidden_grid_dims
    .group_segment_fixed_size: 0
    .kernarg_segment_align: 8
    .kernarg_segment_size: 280
    .language:       OpenCL C
    .language_version:
      - 2
      - 0
    .max_flat_workgroup_size: 1024
    .name:           _ZN9rocsolver6v33100L18copy_array_to_ptrsIdEEvlPKPT_S3_
    .private_segment_fixed_size: 0
    .sgpr_count:     14
    .sgpr_spill_count: 0
    .symbol:         _ZN9rocsolver6v33100L18copy_array_to_ptrsIdEEvlPKPT_S3_.kd
    .uniform_work_group_size: 1
    .uses_dynamic_stack: false
    .vgpr_count:     5
    .vgpr_spill_count: 0
    .wavefront_size: 64
  - .args:
      - .address_space:  global
        .offset:         0
        .size:           8
        .value_kind:     global_buffer
      - .offset:         8
        .size:           4
        .value_kind:     by_value
      - .offset:         12
        .size:           8
        .value_kind:     by_value
    .group_segment_fixed_size: 0
    .kernarg_segment_align: 8
    .kernarg_segment_size: 20
    .language:       OpenCL C
    .language_version:
      - 2
      - 0
    .max_flat_workgroup_size: 32
    .name:           _ZN9rocsolver6v33100L6iota_nI19rocblas_complex_numIfEEEvPT_jS4_
    .private_segment_fixed_size: 0
    .sgpr_count:     10
    .sgpr_spill_count: 0
    .symbol:         _ZN9rocsolver6v33100L6iota_nI19rocblas_complex_numIfEEEvPT_jS4_.kd
    .uniform_work_group_size: 1
    .uses_dynamic_stack: false
    .vgpr_count:     3
    .vgpr_spill_count: 0
    .wavefront_size: 64
  - .args:
      - .offset:         0
        .size:           4
        .value_kind:     by_value
      - .offset:         4
        .size:           4
        .value_kind:     by_value
      - .address_space:  global
        .offset:         8
        .size:           8
        .value_kind:     global_buffer
      - .offset:         16
        .size:           8
        .value_kind:     by_value
      - .offset:         24
        .size:           4
        .value_kind:     by_value
      - .offset:         32
        .size:           8
        .value_kind:     by_value
      - .address_space:  global
        .offset:         40
        .size:           8
        .value_kind:     global_buffer
      - .offset:         48
        .size:           8
        .value_kind:     by_value
      - .address_space:  global
        .offset:         56
        .size:           8
        .value_kind:     global_buffer
      - .offset:         64
        .size:           8
        .value_kind:     by_value
    .group_segment_fixed_size: 0
    .kernarg_segment_align: 8
    .kernarg_segment_size: 72
    .language:       OpenCL C
    .language_version:
      - 2
      - 0
    .max_flat_workgroup_size: 256
    .name:           _ZN9rocsolver6v33100L18geqr2_kernel_smallILi256E19rocblas_complex_numIfEifPKPS3_EEvT1_S7_T3_lS7_lPT2_lPT0_l
    .private_segment_fixed_size: 0
    .sgpr_count:     53
    .sgpr_spill_count: 0
    .symbol:         _ZN9rocsolver6v33100L18geqr2_kernel_smallILi256E19rocblas_complex_numIfEifPKPS3_EEvT1_S7_T3_lS7_lPT2_lPT0_l.kd
    .uniform_work_group_size: 1
    .uses_dynamic_stack: false
    .vgpr_count:     32
    .vgpr_spill_count: 0
    .wavefront_size: 64
  - .args:
      - .address_space:  global
        .offset:         0
        .size:           8
        .value_kind:     global_buffer
      - .offset:         8
        .size:           8
        .value_kind:     by_value
      - .offset:         16
        .size:           4
        .value_kind:     by_value
      - .offset:         20
        .size:           4
        .value_kind:     by_value
      - .offset:         24
        .size:           4
        .value_kind:     hidden_block_count_x
      - .offset:         28
        .size:           4
        .value_kind:     hidden_block_count_y
      - .offset:         32
        .size:           4
        .value_kind:     hidden_block_count_z
      - .offset:         36
        .size:           2
        .value_kind:     hidden_group_size_x
      - .offset:         38
        .size:           2
        .value_kind:     hidden_group_size_y
      - .offset:         40
        .size:           2
        .value_kind:     hidden_group_size_z
      - .offset:         42
        .size:           2
        .value_kind:     hidden_remainder_x
      - .offset:         44
        .size:           2
        .value_kind:     hidden_remainder_y
      - .offset:         46
        .size:           2
        .value_kind:     hidden_remainder_z
      - .offset:         64
        .size:           8
        .value_kind:     hidden_global_offset_x
      - .offset:         72
        .size:           8
        .value_kind:     hidden_global_offset_y
      - .offset:         80
        .size:           8
        .value_kind:     hidden_global_offset_z
      - .offset:         88
        .size:           2
        .value_kind:     hidden_grid_dims
    .group_segment_fixed_size: 0
    .kernarg_segment_align: 8
    .kernarg_segment_size: 280
    .language:       OpenCL C
    .language_version:
      - 2
      - 0
    .max_flat_workgroup_size: 1024
    .name:           _ZN9rocsolver6v33100L16reset_batch_infoI19rocblas_complex_numIfEiiPS3_EEvT2_lT0_T1_
    .private_segment_fixed_size: 0
    .sgpr_count:     16
    .sgpr_spill_count: 0
    .symbol:         _ZN9rocsolver6v33100L16reset_batch_infoI19rocblas_complex_numIfEiiPS3_EEvT2_lT0_T1_.kd
    .uniform_work_group_size: 1
    .uses_dynamic_stack: false
    .vgpr_count:     4
    .vgpr_spill_count: 0
    .wavefront_size: 64
  - .args:
      - .address_space:  global
        .offset:         0
        .size:           8
        .value_kind:     global_buffer
      - .offset:         8
        .size:           8
        .value_kind:     by_value
      - .offset:         16
        .size:           8
        .value_kind:     by_value
      - .address_space:  global
        .offset:         24
        .size:           8
        .value_kind:     global_buffer
      - .offset:         32
        .size:           8
        .value_kind:     by_value
      - .offset:         40
        .size:           4
        .value_kind:     by_value
      - .offset:         48
        .size:           8
        .value_kind:     by_value
      - .offset:         56
        .size:           4
        .value_kind:     by_value
      - .offset:         60
        .size:           1
        .value_kind:     by_value
      - .offset:         64
        .size:           4
        .value_kind:     hidden_block_count_x
      - .offset:         68
        .size:           4
        .value_kind:     hidden_block_count_y
      - .offset:         72
        .size:           4
        .value_kind:     hidden_block_count_z
      - .offset:         76
        .size:           2
        .value_kind:     hidden_group_size_x
      - .offset:         78
        .size:           2
        .value_kind:     hidden_group_size_y
      - .offset:         80
        .size:           2
        .value_kind:     hidden_group_size_z
      - .offset:         82
        .size:           2
        .value_kind:     hidden_remainder_x
      - .offset:         84
        .size:           2
        .value_kind:     hidden_remainder_y
      - .offset:         86
        .size:           2
        .value_kind:     hidden_remainder_z
      - .offset:         104
        .size:           8
        .value_kind:     hidden_global_offset_x
      - .offset:         112
        .size:           8
        .value_kind:     hidden_global_offset_y
      - .offset:         120
        .size:           8
        .value_kind:     hidden_global_offset_z
      - .offset:         128
        .size:           2
        .value_kind:     hidden_grid_dims
    .group_segment_fixed_size: 0
    .kernarg_segment_align: 8
    .kernarg_segment_size: 320
    .language:       OpenCL C
    .language_version:
      - 2
      - 0
    .max_flat_workgroup_size: 1024
    .name:           _ZN9rocsolver6v33100L8set_diagI19rocblas_complex_numIfEifPKPS3_TnNSt9enable_ifIXaa18rocblas_is_complexIT_Ent18rocblas_is_complexIT1_EEiE4typeELi0EEEvPS9_llT2_lT0_lSE_b
    .private_segment_fixed_size: 0
    .sgpr_count:     21
    .sgpr_spill_count: 0
    .symbol:         _ZN9rocsolver6v33100L8set_diagI19rocblas_complex_numIfEifPKPS3_TnNSt9enable_ifIXaa18rocblas_is_complexIT_Ent18rocblas_is_complexIT1_EEiE4typeELi0EEEvPS9_llT2_lT0_lSE_b.kd
    .uniform_work_group_size: 1
    .uses_dynamic_stack: false
    .vgpr_count:     6
    .vgpr_spill_count: 0
    .wavefront_size: 64
  - .args:
      - .address_space:  global
        .offset:         0
        .size:           8
        .value_kind:     global_buffer
      - .offset:         8
        .size:           8
        .value_kind:     by_value
      - .address_space:  global
        .offset:         16
        .size:           8
        .value_kind:     global_buffer
      - .address_space:  global
        .offset:         24
        .size:           8
        .value_kind:     global_buffer
      - .offset:         32
        .size:           8
        .value_kind:     by_value
      - .offset:         40
        .size:           8
        .value_kind:     by_value
      - .address_space:  global
        .offset:         48
        .size:           8
        .value_kind:     global_buffer
      - .offset:         56
        .size:           8
        .value_kind:     by_value
      - .offset:         64
        .size:           8
        .value_kind:     by_value
    .group_segment_fixed_size: 0
    .kernarg_segment_align: 8
    .kernarg_segment_size: 72
    .language:       OpenCL C
    .language_version:
      - 2
      - 0
    .max_flat_workgroup_size: 1024
    .name:           _ZN9rocsolver6v33100L11set_taubetaI19rocblas_complex_numIfEifPKPS3_EEvPT_lS8_T2_llPT1_ll
    .private_segment_fixed_size: 0
    .sgpr_count:     28
    .sgpr_spill_count: 0
    .symbol:         _ZN9rocsolver6v33100L11set_taubetaI19rocblas_complex_numIfEifPKPS3_EEvPT_lS8_T2_llPT1_ll.kd
    .uniform_work_group_size: 1
    .uses_dynamic_stack: false
    .vgpr_count:     21
    .vgpr_spill_count: 0
    .wavefront_size: 64
  - .args:
      - .offset:         0
        .size:           4
        .value_kind:     by_value
      - .offset:         4
        .size:           4
        .value_kind:     by_value
      - .address_space:  global
        .offset:         8
        .size:           8
        .value_kind:     global_buffer
      - .offset:         16
        .size:           8
        .value_kind:     by_value
      - .offset:         24
        .size:           4
        .value_kind:     by_value
      - .offset:         32
        .size:           8
        .value_kind:     by_value
      - .offset:         40
        .size:           4
        .value_kind:     hidden_block_count_x
      - .offset:         44
        .size:           4
        .value_kind:     hidden_block_count_y
      - .offset:         48
        .size:           4
        .value_kind:     hidden_block_count_z
      - .offset:         52
        .size:           2
        .value_kind:     hidden_group_size_x
      - .offset:         54
        .size:           2
        .value_kind:     hidden_group_size_y
      - .offset:         56
        .size:           2
        .value_kind:     hidden_group_size_z
      - .offset:         58
        .size:           2
        .value_kind:     hidden_remainder_x
      - .offset:         60
        .size:           2
        .value_kind:     hidden_remainder_y
      - .offset:         62
        .size:           2
        .value_kind:     hidden_remainder_z
      - .offset:         80
        .size:           8
        .value_kind:     hidden_global_offset_x
      - .offset:         88
        .size:           8
        .value_kind:     hidden_global_offset_y
      - .offset:         96
        .size:           8
        .value_kind:     hidden_global_offset_z
      - .offset:         104
        .size:           2
        .value_kind:     hidden_grid_dims
    .group_segment_fixed_size: 0
    .kernarg_segment_align: 8
    .kernarg_segment_size: 296
    .language:       OpenCL C
    .language_version:
      - 2
      - 0
    .max_flat_workgroup_size: 1024
    .name:           _ZN9rocsolver6v33100L13conj_in_placeI19rocblas_complex_numIfEiPS3_TnNSt9enable_ifIX18rocblas_is_complexIT_EEiE4typeELi0EEEvT0_S9_T1_lS9_l
    .private_segment_fixed_size: 0
    .sgpr_count:     14
    .sgpr_spill_count: 0
    .symbol:         _ZN9rocsolver6v33100L13conj_in_placeI19rocblas_complex_numIfEiPS3_TnNSt9enable_ifIX18rocblas_is_complexIT_EEiE4typeELi0EEEvT0_S9_T1_lS9_l.kd
    .uniform_work_group_size: 1
    .uses_dynamic_stack: false
    .vgpr_count:     7
    .vgpr_spill_count: 0
    .wavefront_size: 64
  - .args:
      - .offset:         0
        .size:           4
        .value_kind:     by_value
      - .offset:         4
        .size:           4
        .value_kind:     by_value
      - .address_space:  global
        .offset:         8
        .size:           8
        .value_kind:     global_buffer
      - .offset:         16
        .size:           8
        .value_kind:     by_value
      - .offset:         24
        .size:           4
        .value_kind:     by_value
      - .offset:         32
        .size:           8
        .value_kind:     by_value
      - .address_space:  global
        .offset:         40
        .size:           8
        .value_kind:     global_buffer
      - .offset:         48
        .size:           8
        .value_kind:     by_value
      - .address_space:  global
        .offset:         56
        .size:           8
        .value_kind:     global_buffer
      - .offset:         64
        .size:           8
        .value_kind:     by_value
      - .offset:         72
        .size:           4
        .value_kind:     by_value
      - .offset:         80
        .size:           8
        .value_kind:     by_value
    .group_segment_fixed_size: 0
    .kernarg_segment_align: 8
    .kernarg_segment_size: 88
    .language:       OpenCL C
    .language_version:
      - 2
      - 0
    .max_flat_workgroup_size: 1024
    .name:           _ZN9rocsolver6v33100L16larf_left_kernelILi1024E19rocblas_complex_numIfEiPKPS3_EEvT1_S7_T2_lS7_lPKT0_lS8_lS7_l
    .private_segment_fixed_size: 0
    .sgpr_count:     34
    .sgpr_spill_count: 0
    .symbol:         _ZN9rocsolver6v33100L16larf_left_kernelILi1024E19rocblas_complex_numIfEiPKPS3_EEvT1_S7_T2_lS7_lPKT0_lS8_lS7_l.kd
    .uniform_work_group_size: 1
    .uses_dynamic_stack: false
    .vgpr_count:     16
    .vgpr_spill_count: 0
    .wavefront_size: 64
  - .args:
      - .offset:         0
        .size:           4
        .value_kind:     by_value
      - .offset:         4
        .size:           4
        .value_kind:     by_value
      - .address_space:  global
        .offset:         8
        .size:           8
        .value_kind:     global_buffer
      - .offset:         16
        .size:           8
        .value_kind:     by_value
      - .offset:         24
        .size:           4
        .value_kind:     by_value
      - .offset:         32
        .size:           8
        .value_kind:     by_value
      - .address_space:  global
        .offset:         40
        .size:           8
        .value_kind:     global_buffer
      - .offset:         48
        .size:           8
        .value_kind:     by_value
      - .address_space:  global
        .offset:         56
        .size:           8
        .value_kind:     global_buffer
      - .offset:         64
        .size:           8
        .value_kind:     by_value
      - .offset:         72
        .size:           4
        .value_kind:     by_value
      - .offset:         80
        .size:           8
        .value_kind:     by_value
    .group_segment_fixed_size: 0
    .kernarg_segment_align: 8
    .kernarg_segment_size: 88
    .language:       OpenCL C
    .language_version:
      - 2
      - 0
    .max_flat_workgroup_size: 1024
    .name:           _ZN9rocsolver6v33100L17larf_right_kernelILi1024E19rocblas_complex_numIfEiPKPS3_EEvT1_S7_T2_lS7_lPKT0_lS8_lS7_l
    .private_segment_fixed_size: 0
    .sgpr_count:     34
    .sgpr_spill_count: 0
    .symbol:         _ZN9rocsolver6v33100L17larf_right_kernelILi1024E19rocblas_complex_numIfEiPKPS3_EEvT1_S7_T2_lS7_lPKT0_lS8_lS7_l.kd
    .uniform_work_group_size: 1
    .uses_dynamic_stack: false
    .vgpr_count:     17
    .vgpr_spill_count: 0
    .wavefront_size: 64
  - .args:
      - .address_space:  global
        .offset:         0
        .size:           8
        .value_kind:     global_buffer
      - .address_space:  global
        .offset:         8
        .size:           8
        .value_kind:     global_buffer
      - .offset:         16
        .size:           8
        .value_kind:     by_value
      - .offset:         24
        .size:           4
        .value_kind:     by_value
      - .offset:         32
        .size:           4
        .value_kind:     hidden_block_count_x
      - .offset:         36
        .size:           4
        .value_kind:     hidden_block_count_y
      - .offset:         40
        .size:           4
        .value_kind:     hidden_block_count_z
      - .offset:         44
        .size:           2
        .value_kind:     hidden_group_size_x
      - .offset:         46
        .size:           2
        .value_kind:     hidden_group_size_y
      - .offset:         48
        .size:           2
        .value_kind:     hidden_group_size_z
      - .offset:         50
        .size:           2
        .value_kind:     hidden_remainder_x
      - .offset:         52
        .size:           2
        .value_kind:     hidden_remainder_y
      - .offset:         54
        .size:           2
        .value_kind:     hidden_remainder_z
      - .offset:         72
        .size:           8
        .value_kind:     hidden_global_offset_x
      - .offset:         80
        .size:           8
        .value_kind:     hidden_global_offset_y
      - .offset:         88
        .size:           8
        .value_kind:     hidden_global_offset_z
      - .offset:         96
        .size:           2
        .value_kind:     hidden_grid_dims
    .group_segment_fixed_size: 0
    .kernarg_segment_align: 8
    .kernarg_segment_size: 288
    .language:       OpenCL C
    .language_version:
      - 2
      - 0
    .max_flat_workgroup_size: 1024
    .name:           _ZN9rocsolver6v33100L9get_arrayI19rocblas_complex_numIfEiEEvPPT_S5_lT0_
    .private_segment_fixed_size: 0
    .sgpr_count:     12
    .sgpr_spill_count: 0
    .symbol:         _ZN9rocsolver6v33100L9get_arrayI19rocblas_complex_numIfEiEEvPPT_S5_lT0_.kd
    .uniform_work_group_size: 1
    .uses_dynamic_stack: false
    .vgpr_count:     7
    .vgpr_spill_count: 0
    .wavefront_size: 64
  - .args:
      - .address_space:  global
        .offset:         0
        .size:           8
        .value_kind:     global_buffer
      - .offset:         8
        .size:           8
        .value_kind:     by_value
      - .offset:         16
        .size:           8
        .value_kind:     by_value
      - .address_space:  global
        .offset:         24
        .size:           8
        .value_kind:     global_buffer
      - .offset:         32
        .size:           8
        .value_kind:     by_value
      - .offset:         40
        .size:           4
        .value_kind:     by_value
      - .offset:         48
        .size:           8
        .value_kind:     by_value
      - .offset:         56
        .size:           4
        .value_kind:     by_value
      - .offset:         64
        .size:           4
        .value_kind:     hidden_block_count_x
      - .offset:         68
        .size:           4
        .value_kind:     hidden_block_count_y
      - .offset:         72
        .size:           4
        .value_kind:     hidden_block_count_z
      - .offset:         76
        .size:           2
        .value_kind:     hidden_group_size_x
      - .offset:         78
        .size:           2
        .value_kind:     hidden_group_size_y
      - .offset:         80
        .size:           2
        .value_kind:     hidden_group_size_z
      - .offset:         82
        .size:           2
        .value_kind:     hidden_remainder_x
      - .offset:         84
        .size:           2
        .value_kind:     hidden_remainder_y
      - .offset:         86
        .size:           2
        .value_kind:     hidden_remainder_z
      - .offset:         104
        .size:           8
        .value_kind:     hidden_global_offset_x
      - .offset:         112
        .size:           8
        .value_kind:     hidden_global_offset_y
      - .offset:         120
        .size:           8
        .value_kind:     hidden_global_offset_z
      - .offset:         128
        .size:           2
        .value_kind:     hidden_grid_dims
    .group_segment_fixed_size: 0
    .kernarg_segment_align: 8
    .kernarg_segment_size: 320
    .language:       OpenCL C
    .language_version:
      - 2
      - 0
    .max_flat_workgroup_size: 1024
    .name:           _ZN9rocsolver6v33100L12restore_diagI19rocblas_complex_numIfEifPKPS3_EEvPT1_llT2_lT0_lSA_
    .private_segment_fixed_size: 0
    .sgpr_count:     21
    .sgpr_spill_count: 0
    .symbol:         _ZN9rocsolver6v33100L12restore_diagI19rocblas_complex_numIfEifPKPS3_EEvPT1_llT2_lT0_lSA_.kd
    .uniform_work_group_size: 1
    .uses_dynamic_stack: false
    .vgpr_count:     5
    .vgpr_spill_count: 0
    .wavefront_size: 64
  - .args:
      - .offset:         0
        .size:           4
        .value_kind:     by_value
      - .offset:         4
        .size:           4
        .value_kind:     by_value
      - .address_space:  global
        .offset:         8
        .size:           8
        .value_kind:     global_buffer
      - .offset:         16
        .size:           4
        .value_kind:     by_value
      - .offset:         20
        .size:           4
        .value_kind:     by_value
      - .offset:         24
        .size:           8
        .value_kind:     by_value
      - .address_space:  global
        .offset:         32
        .size:           8
        .value_kind:     global_buffer
      - .offset:         40
        .size:           4
        .value_kind:     hidden_block_count_x
      - .offset:         44
        .size:           4
        .value_kind:     hidden_block_count_y
      - .offset:         48
        .size:           4
        .value_kind:     hidden_block_count_z
      - .offset:         52
        .size:           2
        .value_kind:     hidden_group_size_x
      - .offset:         54
        .size:           2
        .value_kind:     hidden_group_size_y
      - .offset:         56
        .size:           2
        .value_kind:     hidden_group_size_z
      - .offset:         58
        .size:           2
        .value_kind:     hidden_remainder_x
      - .offset:         60
        .size:           2
        .value_kind:     hidden_remainder_y
      - .offset:         62
        .size:           2
        .value_kind:     hidden_remainder_z
      - .offset:         80
        .size:           8
        .value_kind:     hidden_global_offset_x
      - .offset:         88
        .size:           8
        .value_kind:     hidden_global_offset_y
      - .offset:         96
        .size:           8
        .value_kind:     hidden_global_offset_z
      - .offset:         104
        .size:           2
        .value_kind:     hidden_grid_dims
    .group_segment_fixed_size: 0
    .kernarg_segment_align: 8
    .kernarg_segment_size: 296
    .language:       OpenCL C
    .language_version:
      - 2
      - 0
    .max_flat_workgroup_size: 1024
    .name:           _ZN9rocsolver6v33100L13larft_set_triI19rocblas_complex_numIfEPKPS3_EEv13rocblas_fill_iT0_iilPT_
    .private_segment_fixed_size: 0
    .sgpr_count:     20
    .sgpr_spill_count: 0
    .symbol:         _ZN9rocsolver6v33100L13larft_set_triI19rocblas_complex_numIfEPKPS3_EEv13rocblas_fill_iT0_iilPT_.kd
    .uniform_work_group_size: 1
    .uses_dynamic_stack: false
    .vgpr_count:     10
    .vgpr_spill_count: 0
    .wavefront_size: 64
  - .args:
      - .offset:         0
        .size:           4
        .value_kind:     by_value
      - .address_space:  global
        .offset:         8
        .size:           8
        .value_kind:     global_buffer
      - .offset:         16
        .size:           8
        .value_kind:     by_value
      - .address_space:  global
        .offset:         24
        .size:           8
        .value_kind:     global_buffer
      - .offset:         32
        .size:           4
        .value_kind:     by_value
      - .offset:         40
        .size:           8
        .value_kind:     by_value
      - .offset:         48
        .size:           4
        .value_kind:     hidden_block_count_x
      - .offset:         52
        .size:           4
        .value_kind:     hidden_block_count_y
      - .offset:         56
        .size:           4
        .value_kind:     hidden_block_count_z
      - .offset:         60
        .size:           2
        .value_kind:     hidden_group_size_x
      - .offset:         62
        .size:           2
        .value_kind:     hidden_group_size_y
      - .offset:         64
        .size:           2
        .value_kind:     hidden_group_size_z
      - .offset:         66
        .size:           2
        .value_kind:     hidden_remainder_x
      - .offset:         68
        .size:           2
        .value_kind:     hidden_remainder_y
      - .offset:         70
        .size:           2
        .value_kind:     hidden_remainder_z
      - .offset:         88
        .size:           8
        .value_kind:     hidden_global_offset_x
      - .offset:         96
        .size:           8
        .value_kind:     hidden_global_offset_y
      - .offset:         104
        .size:           8
        .value_kind:     hidden_global_offset_z
      - .offset:         112
        .size:           2
        .value_kind:     hidden_grid_dims
    .group_segment_fixed_size: 0
    .kernarg_segment_align: 8
    .kernarg_segment_size: 304
    .language:       OpenCL C
    .language_version:
      - 2
      - 0
    .max_flat_workgroup_size: 1024
    .name:           _ZN9rocsolver6v33100L14larft_set_diagI19rocblas_complex_numIfEEEviPT_lS5_il
    .private_segment_fixed_size: 0
    .sgpr_count:     16
    .sgpr_spill_count: 0
    .symbol:         _ZN9rocsolver6v33100L14larft_set_diagI19rocblas_complex_numIfEEEviPT_lS5_il.kd
    .uniform_work_group_size: 1
    .uses_dynamic_stack: false
    .vgpr_count:     8
    .vgpr_spill_count: 0
    .wavefront_size: 64
  - .args:
      - .offset:         0
        .size:           4
        .value_kind:     by_value
      - .offset:         4
        .size:           4
        .value_kind:     by_value
      - .address_space:  global
        .offset:         8
        .size:           8
        .value_kind:     global_buffer
      - .offset:         16
        .size:           4
        .value_kind:     by_value
      - .offset:         20
        .size:           4
        .value_kind:     by_value
      - .offset:         24
        .size:           8
        .value_kind:     by_value
      - .address_space:  global
        .offset:         32
        .size:           8
        .value_kind:     global_buffer
      - .offset:         40
        .size:           4
        .value_kind:     hidden_block_count_x
      - .offset:         44
        .size:           4
        .value_kind:     hidden_block_count_y
      - .offset:         48
        .size:           4
        .value_kind:     hidden_block_count_z
      - .offset:         52
        .size:           2
        .value_kind:     hidden_group_size_x
      - .offset:         54
        .size:           2
        .value_kind:     hidden_group_size_y
      - .offset:         56
        .size:           2
        .value_kind:     hidden_group_size_z
      - .offset:         58
        .size:           2
        .value_kind:     hidden_remainder_x
      - .offset:         60
        .size:           2
        .value_kind:     hidden_remainder_y
      - .offset:         62
        .size:           2
        .value_kind:     hidden_remainder_z
      - .offset:         80
        .size:           8
        .value_kind:     hidden_global_offset_x
      - .offset:         88
        .size:           8
        .value_kind:     hidden_global_offset_y
      - .offset:         96
        .size:           8
        .value_kind:     hidden_global_offset_z
      - .offset:         104
        .size:           2
        .value_kind:     hidden_grid_dims
    .group_segment_fixed_size: 0
    .kernarg_segment_align: 8
    .kernarg_segment_size: 296
    .language:       OpenCL C
    .language_version:
      - 2
      - 0
    .max_flat_workgroup_size: 1024
    .name:           _ZN9rocsolver6v33100L17larft_restore_triI19rocblas_complex_numIfEPKPS3_EEv13rocblas_fill_iT0_iilPT_
    .private_segment_fixed_size: 0
    .sgpr_count:     19
    .sgpr_spill_count: 0
    .symbol:         _ZN9rocsolver6v33100L17larft_restore_triI19rocblas_complex_numIfEPKPS3_EEv13rocblas_fill_iT0_iilPT_.kd
    .uniform_work_group_size: 1
    .uses_dynamic_stack: false
    .vgpr_count:     6
    .vgpr_spill_count: 0
    .wavefront_size: 64
  - .args:
      - .offset:         0
        .size:           4
        .value_kind:     by_value
      - .offset:         4
        .size:           4
        .value_kind:     by_value
      - .address_space:  global
        .offset:         8
        .size:           8
        .value_kind:     global_buffer
      - .offset:         16
        .size:           4
        .value_kind:     by_value
      - .offset:         20
        .size:           4
        .value_kind:     by_value
      - .offset:         24
        .size:           8
        .value_kind:     by_value
      - .address_space:  global
        .offset:         32
        .size:           8
        .value_kind:     global_buffer
      - .offset:         40
        .size:           4
        .value_kind:     hidden_block_count_x
      - .offset:         44
        .size:           4
        .value_kind:     hidden_block_count_y
      - .offset:         48
        .size:           4
        .value_kind:     hidden_block_count_z
      - .offset:         52
        .size:           2
        .value_kind:     hidden_group_size_x
      - .offset:         54
        .size:           2
        .value_kind:     hidden_group_size_y
      - .offset:         56
        .size:           2
        .value_kind:     hidden_group_size_z
      - .offset:         58
        .size:           2
        .value_kind:     hidden_remainder_x
      - .offset:         60
        .size:           2
        .value_kind:     hidden_remainder_y
      - .offset:         62
        .size:           2
        .value_kind:     hidden_remainder_z
      - .offset:         80
        .size:           8
        .value_kind:     hidden_global_offset_x
      - .offset:         88
        .size:           8
        .value_kind:     hidden_global_offset_y
      - .offset:         96
        .size:           8
        .value_kind:     hidden_global_offset_z
      - .offset:         104
        .size:           2
        .value_kind:     hidden_grid_dims
    .group_segment_fixed_size: 0
    .kernarg_segment_align: 8
    .kernarg_segment_size: 296
    .language:       OpenCL C
    .language_version:
      - 2
      - 0
    .max_flat_workgroup_size: 1024
    .name:           _ZN9rocsolver6v33100L9copymatA1I19rocblas_complex_numIfEPKPS3_EEviiT0_iilPT_
    .private_segment_fixed_size: 0
    .sgpr_count:     20
    .sgpr_spill_count: 0
    .symbol:         _ZN9rocsolver6v33100L9copymatA1I19rocblas_complex_numIfEPKPS3_EEviiT0_iilPT_.kd
    .uniform_work_group_size: 1
    .uses_dynamic_stack: false
    .vgpr_count:     7
    .vgpr_spill_count: 0
    .wavefront_size: 64
  - .args:
      - .offset:         0
        .size:           4
        .value_kind:     by_value
      - .offset:         4
        .size:           4
        .value_kind:     by_value
      - .address_space:  global
        .offset:         8
        .size:           8
        .value_kind:     global_buffer
      - .offset:         16
        .size:           4
        .value_kind:     by_value
      - .offset:         20
        .size:           4
        .value_kind:     by_value
      - .offset:         24
        .size:           8
        .value_kind:     by_value
      - .address_space:  global
        .offset:         32
        .size:           8
        .value_kind:     global_buffer
      - .offset:         40
        .size:           4
        .value_kind:     hidden_block_count_x
      - .offset:         44
        .size:           4
        .value_kind:     hidden_block_count_y
      - .offset:         48
        .size:           4
        .value_kind:     hidden_block_count_z
      - .offset:         52
        .size:           2
        .value_kind:     hidden_group_size_x
      - .offset:         54
        .size:           2
        .value_kind:     hidden_group_size_y
      - .offset:         56
        .size:           2
        .value_kind:     hidden_group_size_z
      - .offset:         58
        .size:           2
        .value_kind:     hidden_remainder_x
      - .offset:         60
        .size:           2
        .value_kind:     hidden_remainder_y
      - .offset:         62
        .size:           2
        .value_kind:     hidden_remainder_z
      - .offset:         80
        .size:           8
        .value_kind:     hidden_global_offset_x
      - .offset:         88
        .size:           8
        .value_kind:     hidden_global_offset_y
      - .offset:         96
        .size:           8
        .value_kind:     hidden_global_offset_z
      - .offset:         104
        .size:           2
        .value_kind:     hidden_grid_dims
    .group_segment_fixed_size: 0
    .kernarg_segment_align: 8
    .kernarg_segment_size: 296
    .language:       OpenCL C
    .language_version:
      - 2
      - 0
    .max_flat_workgroup_size: 1024
    .name:           _ZN9rocsolver6v33100L8addmatA1I19rocblas_complex_numIfEPKPS3_EEviiT0_iilPT_
    .private_segment_fixed_size: 0
    .sgpr_count:     18
    .sgpr_spill_count: 0
    .symbol:         _ZN9rocsolver6v33100L8addmatA1I19rocblas_complex_numIfEPKPS3_EEviiT0_iilPT_.kd
    .uniform_work_group_size: 1
    .uses_dynamic_stack: false
    .vgpr_count:     8
    .vgpr_spill_count: 0
    .wavefront_size: 64
  - .args:
      - .offset:         0
        .size:           8
        .value_kind:     by_value
      - .address_space:  global
        .offset:         8
        .size:           8
        .value_kind:     global_buffer
      - .address_space:  global
        .offset:         16
        .size:           8
        .value_kind:     global_buffer
      - .offset:         24
        .size:           4
        .value_kind:     hidden_block_count_x
      - .offset:         28
        .size:           4
        .value_kind:     hidden_block_count_y
      - .offset:         32
        .size:           4
        .value_kind:     hidden_block_count_z
      - .offset:         36
        .size:           2
        .value_kind:     hidden_group_size_x
      - .offset:         38
        .size:           2
        .value_kind:     hidden_group_size_y
      - .offset:         40
        .size:           2
        .value_kind:     hidden_group_size_z
      - .offset:         42
        .size:           2
        .value_kind:     hidden_remainder_x
      - .offset:         44
        .size:           2
        .value_kind:     hidden_remainder_y
      - .offset:         46
        .size:           2
        .value_kind:     hidden_remainder_z
      - .offset:         64
        .size:           8
        .value_kind:     hidden_global_offset_x
      - .offset:         72
        .size:           8
        .value_kind:     hidden_global_offset_y
      - .offset:         80
        .size:           8
        .value_kind:     hidden_global_offset_z
      - .offset:         88
        .size:           2
        .value_kind:     hidden_grid_dims
    .group_segment_fixed_size: 0
    .kernarg_segment_align: 8
    .kernarg_segment_size: 280
    .language:       OpenCL C
    .language_version:
      - 2
      - 0
    .max_flat_workgroup_size: 1024
    .name:           _ZN9rocsolver6v33100L18copy_array_to_ptrsI19rocblas_complex_numIfEEEvlPKPT_S5_
    .private_segment_fixed_size: 0
    .sgpr_count:     14
    .sgpr_spill_count: 0
    .symbol:         _ZN9rocsolver6v33100L18copy_array_to_ptrsI19rocblas_complex_numIfEEEvlPKPT_S5_.kd
    .uniform_work_group_size: 1
    .uses_dynamic_stack: false
    .vgpr_count:     5
    .vgpr_spill_count: 0
    .wavefront_size: 64
  - .args:
      - .address_space:  global
        .offset:         0
        .size:           8
        .value_kind:     global_buffer
      - .offset:         8
        .size:           4
        .value_kind:     by_value
      - .offset:         16
        .size:           16
        .value_kind:     by_value
    .group_segment_fixed_size: 0
    .kernarg_segment_align: 8
    .kernarg_segment_size: 32
    .language:       OpenCL C
    .language_version:
      - 2
      - 0
    .max_flat_workgroup_size: 32
    .name:           _ZN9rocsolver6v33100L6iota_nI19rocblas_complex_numIdEEEvPT_jS4_
    .private_segment_fixed_size: 0
    .sgpr_count:     10
    .sgpr_spill_count: 0
    .symbol:         _ZN9rocsolver6v33100L6iota_nI19rocblas_complex_numIdEEEvPT_jS4_.kd
    .uniform_work_group_size: 1
    .uses_dynamic_stack: false
    .vgpr_count:     5
    .vgpr_spill_count: 0
    .wavefront_size: 64
  - .args:
      - .offset:         0
        .size:           4
        .value_kind:     by_value
      - .offset:         4
        .size:           4
        .value_kind:     by_value
      - .address_space:  global
        .offset:         8
        .size:           8
        .value_kind:     global_buffer
      - .offset:         16
        .size:           8
        .value_kind:     by_value
      - .offset:         24
        .size:           4
        .value_kind:     by_value
      - .offset:         32
        .size:           8
        .value_kind:     by_value
      - .address_space:  global
        .offset:         40
        .size:           8
        .value_kind:     global_buffer
      - .offset:         48
        .size:           8
        .value_kind:     by_value
      - .address_space:  global
        .offset:         56
        .size:           8
        .value_kind:     global_buffer
      - .offset:         64
        .size:           8
        .value_kind:     by_value
    .group_segment_fixed_size: 0
    .kernarg_segment_align: 8
    .kernarg_segment_size: 72
    .language:       OpenCL C
    .language_version:
      - 2
      - 0
    .max_flat_workgroup_size: 256
    .name:           _ZN9rocsolver6v33100L18geqr2_kernel_smallILi256E19rocblas_complex_numIdEidPKPS3_EEvT1_S7_T3_lS7_lPT2_lPT0_l
    .private_segment_fixed_size: 0
    .sgpr_count:     54
    .sgpr_spill_count: 0
    .symbol:         _ZN9rocsolver6v33100L18geqr2_kernel_smallILi256E19rocblas_complex_numIdEidPKPS3_EEvT1_S7_T3_lS7_lPT2_lPT0_l.kd
    .uniform_work_group_size: 1
    .uses_dynamic_stack: false
    .vgpr_count:     59
    .vgpr_spill_count: 0
    .wavefront_size: 64
  - .args:
      - .address_space:  global
        .offset:         0
        .size:           8
        .value_kind:     global_buffer
      - .offset:         8
        .size:           8
        .value_kind:     by_value
      - .offset:         16
        .size:           4
        .value_kind:     by_value
      - .offset:         20
        .size:           4
        .value_kind:     by_value
      - .offset:         24
        .size:           4
        .value_kind:     hidden_block_count_x
      - .offset:         28
        .size:           4
        .value_kind:     hidden_block_count_y
      - .offset:         32
        .size:           4
        .value_kind:     hidden_block_count_z
      - .offset:         36
        .size:           2
        .value_kind:     hidden_group_size_x
      - .offset:         38
        .size:           2
        .value_kind:     hidden_group_size_y
      - .offset:         40
        .size:           2
        .value_kind:     hidden_group_size_z
      - .offset:         42
        .size:           2
        .value_kind:     hidden_remainder_x
      - .offset:         44
        .size:           2
        .value_kind:     hidden_remainder_y
      - .offset:         46
        .size:           2
        .value_kind:     hidden_remainder_z
      - .offset:         64
        .size:           8
        .value_kind:     hidden_global_offset_x
      - .offset:         72
        .size:           8
        .value_kind:     hidden_global_offset_y
      - .offset:         80
        .size:           8
        .value_kind:     hidden_global_offset_z
      - .offset:         88
        .size:           2
        .value_kind:     hidden_grid_dims
    .group_segment_fixed_size: 0
    .kernarg_segment_align: 8
    .kernarg_segment_size: 280
    .language:       OpenCL C
    .language_version:
      - 2
      - 0
    .max_flat_workgroup_size: 1024
    .name:           _ZN9rocsolver6v33100L16reset_batch_infoI19rocblas_complex_numIdEiiPS3_EEvT2_lT0_T1_
    .private_segment_fixed_size: 0
    .sgpr_count:     16
    .sgpr_spill_count: 0
    .symbol:         _ZN9rocsolver6v33100L16reset_batch_infoI19rocblas_complex_numIdEiiPS3_EEvT2_lT0_T1_.kd
    .uniform_work_group_size: 1
    .uses_dynamic_stack: false
    .vgpr_count:     6
    .vgpr_spill_count: 0
    .wavefront_size: 64
  - .args:
      - .address_space:  global
        .offset:         0
        .size:           8
        .value_kind:     global_buffer
      - .offset:         8
        .size:           8
        .value_kind:     by_value
      - .offset:         16
        .size:           8
        .value_kind:     by_value
      - .address_space:  global
        .offset:         24
        .size:           8
        .value_kind:     global_buffer
      - .offset:         32
        .size:           8
        .value_kind:     by_value
      - .offset:         40
        .size:           4
        .value_kind:     by_value
      - .offset:         48
        .size:           8
        .value_kind:     by_value
      - .offset:         56
        .size:           4
        .value_kind:     by_value
      - .offset:         60
        .size:           1
        .value_kind:     by_value
      - .offset:         64
        .size:           4
        .value_kind:     hidden_block_count_x
      - .offset:         68
        .size:           4
        .value_kind:     hidden_block_count_y
      - .offset:         72
        .size:           4
        .value_kind:     hidden_block_count_z
      - .offset:         76
        .size:           2
        .value_kind:     hidden_group_size_x
      - .offset:         78
        .size:           2
        .value_kind:     hidden_group_size_y
      - .offset:         80
        .size:           2
        .value_kind:     hidden_group_size_z
      - .offset:         82
        .size:           2
        .value_kind:     hidden_remainder_x
      - .offset:         84
        .size:           2
        .value_kind:     hidden_remainder_y
      - .offset:         86
        .size:           2
        .value_kind:     hidden_remainder_z
      - .offset:         104
        .size:           8
        .value_kind:     hidden_global_offset_x
      - .offset:         112
        .size:           8
        .value_kind:     hidden_global_offset_y
      - .offset:         120
        .size:           8
        .value_kind:     hidden_global_offset_z
      - .offset:         128
        .size:           2
        .value_kind:     hidden_grid_dims
    .group_segment_fixed_size: 0
    .kernarg_segment_align: 8
    .kernarg_segment_size: 320
    .language:       OpenCL C
    .language_version:
      - 2
      - 0
    .max_flat_workgroup_size: 1024
    .name:           _ZN9rocsolver6v33100L8set_diagI19rocblas_complex_numIdEidPKPS3_TnNSt9enable_ifIXaa18rocblas_is_complexIT_Ent18rocblas_is_complexIT1_EEiE4typeELi0EEEvPS9_llT2_lT0_lSE_b
    .private_segment_fixed_size: 0
    .sgpr_count:     21
    .sgpr_spill_count: 0
    .symbol:         _ZN9rocsolver6v33100L8set_diagI19rocblas_complex_numIdEidPKPS3_TnNSt9enable_ifIXaa18rocblas_is_complexIT_Ent18rocblas_is_complexIT1_EEiE4typeELi0EEEvPS9_llT2_lT0_lSE_b.kd
    .uniform_work_group_size: 1
    .uses_dynamic_stack: false
    .vgpr_count:     7
    .vgpr_spill_count: 0
    .wavefront_size: 64
  - .args:
      - .address_space:  global
        .offset:         0
        .size:           8
        .value_kind:     global_buffer
      - .offset:         8
        .size:           8
        .value_kind:     by_value
      - .address_space:  global
        .offset:         16
        .size:           8
        .value_kind:     global_buffer
      - .address_space:  global
        .offset:         24
        .size:           8
        .value_kind:     global_buffer
      - .offset:         32
        .size:           8
        .value_kind:     by_value
      - .offset:         40
        .size:           8
        .value_kind:     by_value
      - .address_space:  global
        .offset:         48
        .size:           8
        .value_kind:     global_buffer
      - .offset:         56
        .size:           8
        .value_kind:     by_value
      - .offset:         64
        .size:           8
        .value_kind:     by_value
    .group_segment_fixed_size: 0
    .kernarg_segment_align: 8
    .kernarg_segment_size: 72
    .language:       OpenCL C
    .language_version:
      - 2
      - 0
    .max_flat_workgroup_size: 1024
    .name:           _ZN9rocsolver6v33100L11set_taubetaI19rocblas_complex_numIdEidPKPS3_EEvPT_lS8_T2_llPT1_ll
    .private_segment_fixed_size: 0
    .sgpr_count:     26
    .sgpr_spill_count: 0
    .symbol:         _ZN9rocsolver6v33100L11set_taubetaI19rocblas_complex_numIdEidPKPS3_EEvPT_lS8_T2_llPT1_ll.kd
    .uniform_work_group_size: 1
    .uses_dynamic_stack: false
    .vgpr_count:     24
    .vgpr_spill_count: 0
    .wavefront_size: 64
  - .args:
      - .offset:         0
        .size:           4
        .value_kind:     by_value
      - .offset:         4
        .size:           4
        .value_kind:     by_value
      - .address_space:  global
        .offset:         8
        .size:           8
        .value_kind:     global_buffer
      - .offset:         16
        .size:           8
        .value_kind:     by_value
      - .offset:         24
        .size:           4
        .value_kind:     by_value
      - .offset:         32
        .size:           8
        .value_kind:     by_value
      - .offset:         40
        .size:           4
        .value_kind:     hidden_block_count_x
      - .offset:         44
        .size:           4
        .value_kind:     hidden_block_count_y
      - .offset:         48
        .size:           4
        .value_kind:     hidden_block_count_z
      - .offset:         52
        .size:           2
        .value_kind:     hidden_group_size_x
      - .offset:         54
        .size:           2
        .value_kind:     hidden_group_size_y
      - .offset:         56
        .size:           2
        .value_kind:     hidden_group_size_z
      - .offset:         58
        .size:           2
        .value_kind:     hidden_remainder_x
      - .offset:         60
        .size:           2
        .value_kind:     hidden_remainder_y
      - .offset:         62
        .size:           2
        .value_kind:     hidden_remainder_z
      - .offset:         80
        .size:           8
        .value_kind:     hidden_global_offset_x
      - .offset:         88
        .size:           8
        .value_kind:     hidden_global_offset_y
      - .offset:         96
        .size:           8
        .value_kind:     hidden_global_offset_z
      - .offset:         104
        .size:           2
        .value_kind:     hidden_grid_dims
    .group_segment_fixed_size: 0
    .kernarg_segment_align: 8
    .kernarg_segment_size: 296
    .language:       OpenCL C
    .language_version:
      - 2
      - 0
    .max_flat_workgroup_size: 1024
    .name:           _ZN9rocsolver6v33100L13conj_in_placeI19rocblas_complex_numIdEiPS3_TnNSt9enable_ifIX18rocblas_is_complexIT_EEiE4typeELi0EEEvT0_S9_T1_lS9_l
    .private_segment_fixed_size: 0
    .sgpr_count:     14
    .sgpr_spill_count: 0
    .symbol:         _ZN9rocsolver6v33100L13conj_in_placeI19rocblas_complex_numIdEiPS3_TnNSt9enable_ifIX18rocblas_is_complexIT_EEiE4typeELi0EEEvT0_S9_T1_lS9_l.kd
    .uniform_work_group_size: 1
    .uses_dynamic_stack: false
    .vgpr_count:     7
    .vgpr_spill_count: 0
    .wavefront_size: 64
  - .args:
      - .offset:         0
        .size:           4
        .value_kind:     by_value
      - .offset:         4
        .size:           4
        .value_kind:     by_value
      - .address_space:  global
        .offset:         8
        .size:           8
        .value_kind:     global_buffer
      - .offset:         16
        .size:           8
        .value_kind:     by_value
      - .offset:         24
        .size:           4
        .value_kind:     by_value
      - .offset:         32
        .size:           8
        .value_kind:     by_value
      - .address_space:  global
        .offset:         40
        .size:           8
        .value_kind:     global_buffer
      - .offset:         48
        .size:           8
        .value_kind:     by_value
      - .address_space:  global
        .offset:         56
        .size:           8
        .value_kind:     global_buffer
      - .offset:         64
        .size:           8
        .value_kind:     by_value
      - .offset:         72
        .size:           4
        .value_kind:     by_value
      - .offset:         80
        .size:           8
        .value_kind:     by_value
    .group_segment_fixed_size: 0
    .kernarg_segment_align: 8
    .kernarg_segment_size: 88
    .language:       OpenCL C
    .language_version:
      - 2
      - 0
    .max_flat_workgroup_size: 1024
    .name:           _ZN9rocsolver6v33100L16larf_left_kernelILi1024E19rocblas_complex_numIdEiPKPS3_EEvT1_S7_T2_lS7_lPKT0_lS8_lS7_l
    .private_segment_fixed_size: 0
    .sgpr_count:     34
    .sgpr_spill_count: 0
    .symbol:         _ZN9rocsolver6v33100L16larf_left_kernelILi1024E19rocblas_complex_numIdEiPKPS3_EEvT1_S7_T2_lS7_lPKT0_lS8_lS7_l.kd
    .uniform_work_group_size: 1
    .uses_dynamic_stack: false
    .vgpr_count:     19
    .vgpr_spill_count: 0
    .wavefront_size: 64
  - .args:
      - .offset:         0
        .size:           4
        .value_kind:     by_value
      - .offset:         4
        .size:           4
        .value_kind:     by_value
      - .address_space:  global
        .offset:         8
        .size:           8
        .value_kind:     global_buffer
      - .offset:         16
        .size:           8
        .value_kind:     by_value
      - .offset:         24
        .size:           4
        .value_kind:     by_value
      - .offset:         32
        .size:           8
        .value_kind:     by_value
      - .address_space:  global
        .offset:         40
        .size:           8
        .value_kind:     global_buffer
      - .offset:         48
        .size:           8
        .value_kind:     by_value
      - .address_space:  global
        .offset:         56
        .size:           8
        .value_kind:     global_buffer
      - .offset:         64
        .size:           8
        .value_kind:     by_value
      - .offset:         72
        .size:           4
        .value_kind:     by_value
      - .offset:         80
        .size:           8
        .value_kind:     by_value
    .group_segment_fixed_size: 0
    .kernarg_segment_align: 8
    .kernarg_segment_size: 88
    .language:       OpenCL C
    .language_version:
      - 2
      - 0
    .max_flat_workgroup_size: 1024
    .name:           _ZN9rocsolver6v33100L17larf_right_kernelILi1024E19rocblas_complex_numIdEiPKPS3_EEvT1_S7_T2_lS7_lPKT0_lS8_lS7_l
    .private_segment_fixed_size: 0
    .sgpr_count:     36
    .sgpr_spill_count: 0
    .symbol:         _ZN9rocsolver6v33100L17larf_right_kernelILi1024E19rocblas_complex_numIdEiPKPS3_EEvT1_S7_T2_lS7_lPKT0_lS8_lS7_l.kd
    .uniform_work_group_size: 1
    .uses_dynamic_stack: false
    .vgpr_count:     21
    .vgpr_spill_count: 0
    .wavefront_size: 64
  - .args:
      - .address_space:  global
        .offset:         0
        .size:           8
        .value_kind:     global_buffer
      - .address_space:  global
        .offset:         8
        .size:           8
        .value_kind:     global_buffer
      - .offset:         16
        .size:           8
        .value_kind:     by_value
      - .offset:         24
        .size:           4
        .value_kind:     by_value
      - .offset:         32
        .size:           4
        .value_kind:     hidden_block_count_x
      - .offset:         36
        .size:           4
        .value_kind:     hidden_block_count_y
      - .offset:         40
        .size:           4
        .value_kind:     hidden_block_count_z
      - .offset:         44
        .size:           2
        .value_kind:     hidden_group_size_x
      - .offset:         46
        .size:           2
        .value_kind:     hidden_group_size_y
      - .offset:         48
        .size:           2
        .value_kind:     hidden_group_size_z
      - .offset:         50
        .size:           2
        .value_kind:     hidden_remainder_x
      - .offset:         52
        .size:           2
        .value_kind:     hidden_remainder_y
      - .offset:         54
        .size:           2
        .value_kind:     hidden_remainder_z
      - .offset:         72
        .size:           8
        .value_kind:     hidden_global_offset_x
      - .offset:         80
        .size:           8
        .value_kind:     hidden_global_offset_y
      - .offset:         88
        .size:           8
        .value_kind:     hidden_global_offset_z
      - .offset:         96
        .size:           2
        .value_kind:     hidden_grid_dims
    .group_segment_fixed_size: 0
    .kernarg_segment_align: 8
    .kernarg_segment_size: 288
    .language:       OpenCL C
    .language_version:
      - 2
      - 0
    .max_flat_workgroup_size: 1024
    .name:           _ZN9rocsolver6v33100L9get_arrayI19rocblas_complex_numIdEiEEvPPT_S5_lT0_
    .private_segment_fixed_size: 0
    .sgpr_count:     12
    .sgpr_spill_count: 0
    .symbol:         _ZN9rocsolver6v33100L9get_arrayI19rocblas_complex_numIdEiEEvPPT_S5_lT0_.kd
    .uniform_work_group_size: 1
    .uses_dynamic_stack: false
    .vgpr_count:     7
    .vgpr_spill_count: 0
    .wavefront_size: 64
  - .args:
      - .address_space:  global
        .offset:         0
        .size:           8
        .value_kind:     global_buffer
      - .offset:         8
        .size:           8
        .value_kind:     by_value
      - .offset:         16
        .size:           8
        .value_kind:     by_value
      - .address_space:  global
        .offset:         24
        .size:           8
        .value_kind:     global_buffer
      - .offset:         32
        .size:           8
        .value_kind:     by_value
      - .offset:         40
        .size:           4
        .value_kind:     by_value
      - .offset:         48
        .size:           8
        .value_kind:     by_value
      - .offset:         56
        .size:           4
        .value_kind:     by_value
      - .offset:         64
        .size:           4
        .value_kind:     hidden_block_count_x
      - .offset:         68
        .size:           4
        .value_kind:     hidden_block_count_y
      - .offset:         72
        .size:           4
        .value_kind:     hidden_block_count_z
      - .offset:         76
        .size:           2
        .value_kind:     hidden_group_size_x
      - .offset:         78
        .size:           2
        .value_kind:     hidden_group_size_y
      - .offset:         80
        .size:           2
        .value_kind:     hidden_group_size_z
      - .offset:         82
        .size:           2
        .value_kind:     hidden_remainder_x
      - .offset:         84
        .size:           2
        .value_kind:     hidden_remainder_y
      - .offset:         86
        .size:           2
        .value_kind:     hidden_remainder_z
      - .offset:         104
        .size:           8
        .value_kind:     hidden_global_offset_x
      - .offset:         112
        .size:           8
        .value_kind:     hidden_global_offset_y
      - .offset:         120
        .size:           8
        .value_kind:     hidden_global_offset_z
      - .offset:         128
        .size:           2
        .value_kind:     hidden_grid_dims
    .group_segment_fixed_size: 0
    .kernarg_segment_align: 8
    .kernarg_segment_size: 320
    .language:       OpenCL C
    .language_version:
      - 2
      - 0
    .max_flat_workgroup_size: 1024
    .name:           _ZN9rocsolver6v33100L12restore_diagI19rocblas_complex_numIdEidPKPS3_EEvPT1_llT2_lT0_lSA_
    .private_segment_fixed_size: 0
    .sgpr_count:     21
    .sgpr_spill_count: 0
    .symbol:         _ZN9rocsolver6v33100L12restore_diagI19rocblas_complex_numIdEidPKPS3_EEvPT1_llT2_lT0_lSA_.kd
    .uniform_work_group_size: 1
    .uses_dynamic_stack: false
    .vgpr_count:     6
    .vgpr_spill_count: 0
    .wavefront_size: 64
  - .args:
      - .offset:         0
        .size:           4
        .value_kind:     by_value
      - .offset:         4
        .size:           4
        .value_kind:     by_value
      - .address_space:  global
        .offset:         8
        .size:           8
        .value_kind:     global_buffer
      - .offset:         16
        .size:           4
        .value_kind:     by_value
      - .offset:         20
        .size:           4
        .value_kind:     by_value
      - .offset:         24
        .size:           8
        .value_kind:     by_value
      - .address_space:  global
        .offset:         32
        .size:           8
        .value_kind:     global_buffer
      - .offset:         40
        .size:           4
        .value_kind:     hidden_block_count_x
      - .offset:         44
        .size:           4
        .value_kind:     hidden_block_count_y
      - .offset:         48
        .size:           4
        .value_kind:     hidden_block_count_z
      - .offset:         52
        .size:           2
        .value_kind:     hidden_group_size_x
      - .offset:         54
        .size:           2
        .value_kind:     hidden_group_size_y
      - .offset:         56
        .size:           2
        .value_kind:     hidden_group_size_z
      - .offset:         58
        .size:           2
        .value_kind:     hidden_remainder_x
      - .offset:         60
        .size:           2
        .value_kind:     hidden_remainder_y
      - .offset:         62
        .size:           2
        .value_kind:     hidden_remainder_z
      - .offset:         80
        .size:           8
        .value_kind:     hidden_global_offset_x
      - .offset:         88
        .size:           8
        .value_kind:     hidden_global_offset_y
      - .offset:         96
        .size:           8
        .value_kind:     hidden_global_offset_z
      - .offset:         104
        .size:           2
        .value_kind:     hidden_grid_dims
    .group_segment_fixed_size: 0
    .kernarg_segment_align: 8
    .kernarg_segment_size: 296
    .language:       OpenCL C
    .language_version:
      - 2
      - 0
    .max_flat_workgroup_size: 1024
    .name:           _ZN9rocsolver6v33100L13larft_set_triI19rocblas_complex_numIdEPKPS3_EEv13rocblas_fill_iT0_iilPT_
    .private_segment_fixed_size: 0
    .sgpr_count:     20
    .sgpr_spill_count: 0
    .symbol:         _ZN9rocsolver6v33100L13larft_set_triI19rocblas_complex_numIdEPKPS3_EEv13rocblas_fill_iT0_iilPT_.kd
    .uniform_work_group_size: 1
    .uses_dynamic_stack: false
    .vgpr_count:     14
    .vgpr_spill_count: 0
    .wavefront_size: 64
  - .args:
      - .offset:         0
        .size:           4
        .value_kind:     by_value
      - .address_space:  global
        .offset:         8
        .size:           8
        .value_kind:     global_buffer
      - .offset:         16
        .size:           8
        .value_kind:     by_value
      - .address_space:  global
        .offset:         24
        .size:           8
        .value_kind:     global_buffer
      - .offset:         32
        .size:           4
        .value_kind:     by_value
      - .offset:         40
        .size:           8
        .value_kind:     by_value
      - .offset:         48
        .size:           4
        .value_kind:     hidden_block_count_x
      - .offset:         52
        .size:           4
        .value_kind:     hidden_block_count_y
      - .offset:         56
        .size:           4
        .value_kind:     hidden_block_count_z
      - .offset:         60
        .size:           2
        .value_kind:     hidden_group_size_x
      - .offset:         62
        .size:           2
        .value_kind:     hidden_group_size_y
      - .offset:         64
        .size:           2
        .value_kind:     hidden_group_size_z
      - .offset:         66
        .size:           2
        .value_kind:     hidden_remainder_x
      - .offset:         68
        .size:           2
        .value_kind:     hidden_remainder_y
      - .offset:         70
        .size:           2
        .value_kind:     hidden_remainder_z
      - .offset:         88
        .size:           8
        .value_kind:     hidden_global_offset_x
      - .offset:         96
        .size:           8
        .value_kind:     hidden_global_offset_y
      - .offset:         104
        .size:           8
        .value_kind:     hidden_global_offset_z
      - .offset:         112
        .size:           2
        .value_kind:     hidden_grid_dims
    .group_segment_fixed_size: 0
    .kernarg_segment_align: 8
    .kernarg_segment_size: 304
    .language:       OpenCL C
    .language_version:
      - 2
      - 0
    .max_flat_workgroup_size: 1024
    .name:           _ZN9rocsolver6v33100L14larft_set_diagI19rocblas_complex_numIdEEEviPT_lS5_il
    .private_segment_fixed_size: 0
    .sgpr_count:     16
    .sgpr_spill_count: 0
    .symbol:         _ZN9rocsolver6v33100L14larft_set_diagI19rocblas_complex_numIdEEEviPT_lS5_il.kd
    .uniform_work_group_size: 1
    .uses_dynamic_stack: false
    .vgpr_count:     13
    .vgpr_spill_count: 0
    .wavefront_size: 64
  - .args:
      - .offset:         0
        .size:           4
        .value_kind:     by_value
      - .offset:         4
        .size:           4
        .value_kind:     by_value
      - .address_space:  global
        .offset:         8
        .size:           8
        .value_kind:     global_buffer
      - .offset:         16
        .size:           4
        .value_kind:     by_value
      - .offset:         20
        .size:           4
        .value_kind:     by_value
      - .offset:         24
        .size:           8
        .value_kind:     by_value
      - .address_space:  global
        .offset:         32
        .size:           8
        .value_kind:     global_buffer
      - .offset:         40
        .size:           4
        .value_kind:     hidden_block_count_x
      - .offset:         44
        .size:           4
        .value_kind:     hidden_block_count_y
      - .offset:         48
        .size:           4
        .value_kind:     hidden_block_count_z
      - .offset:         52
        .size:           2
        .value_kind:     hidden_group_size_x
      - .offset:         54
        .size:           2
        .value_kind:     hidden_group_size_y
      - .offset:         56
        .size:           2
        .value_kind:     hidden_group_size_z
      - .offset:         58
        .size:           2
        .value_kind:     hidden_remainder_x
      - .offset:         60
        .size:           2
        .value_kind:     hidden_remainder_y
      - .offset:         62
        .size:           2
        .value_kind:     hidden_remainder_z
      - .offset:         80
        .size:           8
        .value_kind:     hidden_global_offset_x
      - .offset:         88
        .size:           8
        .value_kind:     hidden_global_offset_y
      - .offset:         96
        .size:           8
        .value_kind:     hidden_global_offset_z
      - .offset:         104
        .size:           2
        .value_kind:     hidden_grid_dims
    .group_segment_fixed_size: 0
    .kernarg_segment_align: 8
    .kernarg_segment_size: 296
    .language:       OpenCL C
    .language_version:
      - 2
      - 0
    .max_flat_workgroup_size: 1024
    .name:           _ZN9rocsolver6v33100L17larft_restore_triI19rocblas_complex_numIdEPKPS3_EEv13rocblas_fill_iT0_iilPT_
    .private_segment_fixed_size: 0
    .sgpr_count:     19
    .sgpr_spill_count: 0
    .symbol:         _ZN9rocsolver6v33100L17larft_restore_triI19rocblas_complex_numIdEPKPS3_EEv13rocblas_fill_iT0_iilPT_.kd
    .uniform_work_group_size: 1
    .uses_dynamic_stack: false
    .vgpr_count:     7
    .vgpr_spill_count: 0
    .wavefront_size: 64
  - .args:
      - .offset:         0
        .size:           4
        .value_kind:     by_value
      - .offset:         4
        .size:           4
        .value_kind:     by_value
      - .address_space:  global
        .offset:         8
        .size:           8
        .value_kind:     global_buffer
      - .offset:         16
        .size:           4
        .value_kind:     by_value
      - .offset:         20
        .size:           4
        .value_kind:     by_value
      - .offset:         24
        .size:           8
        .value_kind:     by_value
      - .address_space:  global
        .offset:         32
        .size:           8
        .value_kind:     global_buffer
      - .offset:         40
        .size:           4
        .value_kind:     hidden_block_count_x
      - .offset:         44
        .size:           4
        .value_kind:     hidden_block_count_y
      - .offset:         48
        .size:           4
        .value_kind:     hidden_block_count_z
      - .offset:         52
        .size:           2
        .value_kind:     hidden_group_size_x
      - .offset:         54
        .size:           2
        .value_kind:     hidden_group_size_y
      - .offset:         56
        .size:           2
        .value_kind:     hidden_group_size_z
      - .offset:         58
        .size:           2
        .value_kind:     hidden_remainder_x
      - .offset:         60
        .size:           2
        .value_kind:     hidden_remainder_y
      - .offset:         62
        .size:           2
        .value_kind:     hidden_remainder_z
      - .offset:         80
        .size:           8
        .value_kind:     hidden_global_offset_x
      - .offset:         88
        .size:           8
        .value_kind:     hidden_global_offset_y
      - .offset:         96
        .size:           8
        .value_kind:     hidden_global_offset_z
      - .offset:         104
        .size:           2
        .value_kind:     hidden_grid_dims
    .group_segment_fixed_size: 0
    .kernarg_segment_align: 8
    .kernarg_segment_size: 296
    .language:       OpenCL C
    .language_version:
      - 2
      - 0
    .max_flat_workgroup_size: 1024
    .name:           _ZN9rocsolver6v33100L9copymatA1I19rocblas_complex_numIdEPKPS3_EEviiT0_iilPT_
    .private_segment_fixed_size: 0
    .sgpr_count:     20
    .sgpr_spill_count: 0
    .symbol:         _ZN9rocsolver6v33100L9copymatA1I19rocblas_complex_numIdEPKPS3_EEviiT0_iilPT_.kd
    .uniform_work_group_size: 1
    .uses_dynamic_stack: false
    .vgpr_count:     8
    .vgpr_spill_count: 0
    .wavefront_size: 64
  - .args:
      - .offset:         0
        .size:           4
        .value_kind:     by_value
      - .offset:         4
        .size:           4
        .value_kind:     by_value
      - .address_space:  global
        .offset:         8
        .size:           8
        .value_kind:     global_buffer
      - .offset:         16
        .size:           4
        .value_kind:     by_value
      - .offset:         20
        .size:           4
        .value_kind:     by_value
      - .offset:         24
        .size:           8
        .value_kind:     by_value
      - .address_space:  global
        .offset:         32
        .size:           8
        .value_kind:     global_buffer
      - .offset:         40
        .size:           4
        .value_kind:     hidden_block_count_x
      - .offset:         44
        .size:           4
        .value_kind:     hidden_block_count_y
      - .offset:         48
        .size:           4
        .value_kind:     hidden_block_count_z
      - .offset:         52
        .size:           2
        .value_kind:     hidden_group_size_x
      - .offset:         54
        .size:           2
        .value_kind:     hidden_group_size_y
      - .offset:         56
        .size:           2
        .value_kind:     hidden_group_size_z
      - .offset:         58
        .size:           2
        .value_kind:     hidden_remainder_x
      - .offset:         60
        .size:           2
        .value_kind:     hidden_remainder_y
      - .offset:         62
        .size:           2
        .value_kind:     hidden_remainder_z
      - .offset:         80
        .size:           8
        .value_kind:     hidden_global_offset_x
      - .offset:         88
        .size:           8
        .value_kind:     hidden_global_offset_y
      - .offset:         96
        .size:           8
        .value_kind:     hidden_global_offset_z
      - .offset:         104
        .size:           2
        .value_kind:     hidden_grid_dims
    .group_segment_fixed_size: 0
    .kernarg_segment_align: 8
    .kernarg_segment_size: 296
    .language:       OpenCL C
    .language_version:
      - 2
      - 0
    .max_flat_workgroup_size: 1024
    .name:           _ZN9rocsolver6v33100L8addmatA1I19rocblas_complex_numIdEPKPS3_EEviiT0_iilPT_
    .private_segment_fixed_size: 0
    .sgpr_count:     18
    .sgpr_spill_count: 0
    .symbol:         _ZN9rocsolver6v33100L8addmatA1I19rocblas_complex_numIdEPKPS3_EEviiT0_iilPT_.kd
    .uniform_work_group_size: 1
    .uses_dynamic_stack: false
    .vgpr_count:     12
    .vgpr_spill_count: 0
    .wavefront_size: 64
  - .args:
      - .offset:         0
        .size:           8
        .value_kind:     by_value
      - .address_space:  global
        .offset:         8
        .size:           8
        .value_kind:     global_buffer
      - .address_space:  global
        .offset:         16
        .size:           8
        .value_kind:     global_buffer
      - .offset:         24
        .size:           4
        .value_kind:     hidden_block_count_x
      - .offset:         28
        .size:           4
        .value_kind:     hidden_block_count_y
      - .offset:         32
        .size:           4
        .value_kind:     hidden_block_count_z
      - .offset:         36
        .size:           2
        .value_kind:     hidden_group_size_x
      - .offset:         38
        .size:           2
        .value_kind:     hidden_group_size_y
      - .offset:         40
        .size:           2
        .value_kind:     hidden_group_size_z
      - .offset:         42
        .size:           2
        .value_kind:     hidden_remainder_x
      - .offset:         44
        .size:           2
        .value_kind:     hidden_remainder_y
      - .offset:         46
        .size:           2
        .value_kind:     hidden_remainder_z
      - .offset:         64
        .size:           8
        .value_kind:     hidden_global_offset_x
      - .offset:         72
        .size:           8
        .value_kind:     hidden_global_offset_y
      - .offset:         80
        .size:           8
        .value_kind:     hidden_global_offset_z
      - .offset:         88
        .size:           2
        .value_kind:     hidden_grid_dims
    .group_segment_fixed_size: 0
    .kernarg_segment_align: 8
    .kernarg_segment_size: 280
    .language:       OpenCL C
    .language_version:
      - 2
      - 0
    .max_flat_workgroup_size: 1024
    .name:           _ZN9rocsolver6v33100L18copy_array_to_ptrsI19rocblas_complex_numIdEEEvlPKPT_S5_
    .private_segment_fixed_size: 0
    .sgpr_count:     14
    .sgpr_spill_count: 0
    .symbol:         _ZN9rocsolver6v33100L18copy_array_to_ptrsI19rocblas_complex_numIdEEEvlPKPT_S5_.kd
    .uniform_work_group_size: 1
    .uses_dynamic_stack: false
    .vgpr_count:     7
    .vgpr_spill_count: 0
    .wavefront_size: 64
amdhsa.target:   amdgcn-amd-amdhsa--gfx906
amdhsa.version:
  - 1
  - 2
...

	.end_amdgpu_metadata
